;; amdgpu-corpus repo=ROCm/rocFFT kind=compiled arch=gfx950 opt=O3
	.text
	.amdgcn_target "amdgcn-amd-amdhsa--gfx950"
	.amdhsa_code_object_version 6
	.protected	bluestein_single_fwd_len840_dim1_sp_op_CI_CI ; -- Begin function bluestein_single_fwd_len840_dim1_sp_op_CI_CI
	.globl	bluestein_single_fwd_len840_dim1_sp_op_CI_CI
	.p2align	8
	.type	bluestein_single_fwd_len840_dim1_sp_op_CI_CI,@function
bluestein_single_fwd_len840_dim1_sp_op_CI_CI: ; @bluestein_single_fwd_len840_dim1_sp_op_CI_CI
; %bb.0:
	s_load_dwordx4 s[8:11], s[0:1], 0x28
	v_mul_u32_u24_e32 v1, 0x493, v0
	v_mov_b32_e32 v127, 0
	v_add_u32_sdwa v134, s2, v1 dst_sel:DWORD dst_unused:UNUSED_PAD src0_sel:DWORD src1_sel:WORD_1
	v_mov_b32_e32 v135, v127
	s_waitcnt lgkmcnt(0)
	v_cmp_gt_u64_e32 vcc, s[8:9], v[134:135]
	s_and_saveexec_b64 s[2:3], vcc
	s_cbranch_execz .LBB0_41
; %bb.1:
	s_load_dwordx4 s[4:7], s[0:1], 0x18
	s_load_dwordx2 s[14:15], s[0:1], 0x0
	v_mov_b32_e32 v2, s10
	v_mov_b32_e32 v3, s11
	;; [unrolled: 1-line block ×3, first 2 shown]
	s_waitcnt lgkmcnt(0)
	s_load_dwordx4 s[8:11], s[4:5], 0x0
	v_mul_lo_u16_sdwa v1, v1, v4 dst_sel:DWORD dst_unused:UNUSED_PAD src0_sel:WORD_1 src1_sel:DWORD
	v_sub_u16_e32 v126, v0, v1
	v_lshlrev_b32_e32 v110, 3, v126
	v_mov_b32_e32 v111, v127
	s_waitcnt lgkmcnt(0)
	v_mad_u64_u32 v[0:1], s[2:3], s10, v134, 0
	v_mov_b32_e32 v4, v1
	v_mad_u64_u32 v[4:5], s[2:3], s11, v134, v[4:5]
	v_mov_b32_e32 v1, v4
	v_mad_u64_u32 v[4:5], s[2:3], s8, v126, 0
	v_mov_b32_e32 v6, v5
	v_mad_u64_u32 v[6:7], s[2:3], s9, v126, v[6:7]
	s_mul_i32 s2, s9, 0x1a4
	s_mul_hi_u32 s3, s8, 0x1a4
	s_mul_hi_u32 s5, s8, 0xfffffe94
	v_mov_b32_e32 v5, v6
	v_lshl_add_u64 v[0:1], v[0:1], 3, v[2:3]
	s_add_i32 s3, s3, s2
	s_mul_i32 s2, s8, 0x1a4
	s_mul_i32 s4, s9, 0xfffffe94
	s_sub_i32 s5, s5, s8
	v_lshl_add_u64 v[0:1], v[4:5], 3, v[0:1]
	s_lshl_b64 s[10:11], s[2:3], 3
	s_add_i32 s5, s5, s4
	s_mul_i32 s4, s8, 0xfffffe94
	v_lshl_add_u64 v[2:3], v[0:1], 0, s[10:11]
	global_load_dwordx2 v[4:5], v[0:1], off
	global_load_dwordx2 v[6:7], v[2:3], off
	global_load_dwordx2 v[140:141], v110, s[14:15] offset:3360
	global_load_dwordx2 v[142:143], v110, s[14:15]
	s_lshl_b64 s[8:9], s[4:5], 3
	v_lshl_add_u64 v[0:1], v[2:3], 0, s[8:9]
	v_lshl_add_u64 v[108:109], s[14:15], 0, v[110:111]
	global_load_dwordx2 v[138:139], v110, s[14:15] offset:448
	global_load_dwordx2 v[2:3], v[0:1], off
	v_lshl_add_u64 v[0:1], v[0:1], 0, s[10:11]
	s_movk_i32 s12, 0x1000
	global_load_dwordx2 v[8:9], v[0:1], off
	global_load_dwordx2 v[136:137], v110, s[14:15] offset:3808
	v_lshl_add_u64 v[0:1], v[0:1], 0, s[8:9]
	v_add_co_u32_e32 v14, vcc, s12, v108
	global_load_dwordx2 v[10:11], v[0:1], off
	global_load_dwordx2 v[130:131], v110, s[14:15] offset:896
	v_lshl_add_u64 v[0:1], v[0:1], 0, s[10:11]
	v_addc_co_u32_e32 v15, vcc, 0, v109, vcc
	global_load_dwordx2 v[12:13], v[0:1], off
	global_load_dwordx2 v[132:133], v[14:15], off offset:160
	v_lshl_add_u64 v[0:1], v[0:1], 0, s[8:9]
	global_load_dwordx2 v[16:17], v[0:1], off
	global_load_dwordx2 v[128:129], v110, s[14:15] offset:1344
	v_lshl_add_u64 v[0:1], v[0:1], 0, s[10:11]
	global_load_dwordx2 v[18:19], v[0:1], off
	global_load_dwordx2 v[124:125], v[14:15], off offset:608
	v_lshl_add_u64 v[0:1], v[0:1], 0, s[8:9]
	global_load_dwordx2 v[20:21], v[0:1], off
	global_load_dwordx2 v[122:123], v110, s[14:15] offset:1792
	v_lshl_add_u64 v[0:1], v[0:1], 0, s[10:11]
	global_load_dwordx2 v[22:23], v[0:1], off
	global_load_dwordx2 v[120:121], v[14:15], off offset:1056
	v_lshl_add_u64 v[0:1], v[0:1], 0, s[8:9]
	global_load_dwordx2 v[24:25], v[0:1], off
	global_load_dwordx2 v[118:119], v110, s[14:15] offset:2240
	v_lshl_add_u64 v[0:1], v[0:1], 0, s[10:11]
	global_load_dwordx2 v[26:27], v[0:1], off
	global_load_dwordx2 v[116:117], v[14:15], off offset:1504
	v_lshl_add_u64 v[0:1], v[0:1], 0, s[8:9]
	global_load_dwordx2 v[28:29], v[0:1], off
	global_load_dwordx2 v[114:115], v110, s[14:15] offset:2688
	v_lshl_add_u64 v[0:1], v[0:1], 0, s[10:11]
	global_load_dwordx2 v[112:113], v[14:15], off offset:1952
	global_load_dwordx2 v[30:31], v[0:1], off
	s_load_dwordx2 s[12:13], s[0:1], 0x38
	s_load_dwordx4 s[8:11], s[6:7], 0x0
	v_cmp_gt_u16_e64 s[6:7], 28, v126
	s_waitcnt vmcnt(24)
	v_mul_f32_e32 v14, v5, v143
	v_mul_f32_e32 v15, v4, v143
	v_fmac_f32_e32 v14, v4, v142
	v_mul_f32_e32 v4, v7, v141
	v_fma_f32 v15, v5, v142, -v15
	v_mul_f32_e32 v5, v6, v141
	v_fmac_f32_e32 v4, v6, v140
	s_waitcnt vmcnt(22)
	v_mul_f32_e32 v6, v3, v139
	v_fma_f32 v5, v7, v140, -v5
	v_mul_f32_e32 v7, v2, v139
	v_fmac_f32_e32 v6, v2, v138
	s_waitcnt vmcnt(20)
	v_mul_f32_e32 v2, v8, v137
	ds_write_b64 v110, v[4:5] offset:3360
	v_fma_f32 v7, v3, v138, -v7
	v_mul_f32_e32 v4, v9, v137
	v_fma_f32 v5, v9, v136, -v2
	s_waitcnt vmcnt(18)
	v_mul_f32_e32 v2, v10, v131
	ds_write2_b64 v110, v[14:15], v[6:7] offset1:56
	v_fmac_f32_e32 v4, v8, v136
	v_fma_f32 v7, v11, v130, -v2
	s_waitcnt vmcnt(16)
	v_mul_f32_e32 v8, v13, v133
	v_mul_f32_e32 v2, v12, v133
	v_fmac_f32_e32 v8, v12, v132
	v_fma_f32 v9, v13, v132, -v2
	v_add_u32_e32 v2, 0xc00, v110
	v_mul_f32_e32 v6, v11, v131
	ds_write2_b64 v2, v[4:5], v[8:9] offset0:92 offset1:148
	s_waitcnt vmcnt(14)
	v_mul_f32_e32 v4, v17, v129
	v_mul_f32_e32 v3, v16, v129
	v_fmac_f32_e32 v6, v10, v130
	v_fmac_f32_e32 v4, v16, v128
	v_fma_f32 v5, v17, v128, -v3
	s_waitcnt vmcnt(12)
	v_mul_f32_e32 v3, v18, v125
	ds_write2_b64 v110, v[6:7], v[4:5] offset0:112 offset1:168
	v_fma_f32 v5, v19, v124, -v3
	s_waitcnt vmcnt(10)
	v_mul_f32_e32 v3, v20, v123
	v_mul_f32_e32 v4, v19, v125
	v_fma_f32 v7, v21, v122, -v3
	s_waitcnt vmcnt(8)
	v_mul_f32_e32 v8, v23, v121
	v_mul_f32_e32 v3, v22, v121
	v_fmac_f32_e32 v4, v18, v124
	v_fmac_f32_e32 v8, v22, v120
	v_fma_f32 v9, v23, v120, -v3
	v_add_u32_e32 v3, 0x1000, v110
	v_mul_f32_e32 v6, v21, v123
	ds_write2_b64 v3, v[4:5], v[8:9] offset0:76 offset1:132
	s_waitcnt vmcnt(6)
	v_mul_f32_e32 v4, v25, v119
	v_mul_f32_e32 v5, v24, v119
	v_fmac_f32_e32 v6, v20, v122
	v_fmac_f32_e32 v4, v24, v118
	v_fma_f32 v5, v25, v118, -v5
	v_add_u32_e32 v8, 0x400, v110
	ds_write2_b64 v8, v[6:7], v[4:5] offset0:96 offset1:152
	s_waitcnt vmcnt(2)
	v_mul_f32_e32 v6, v29, v115
	v_mul_f32_e32 v7, v28, v115
	v_fmac_f32_e32 v6, v28, v114
	v_fma_f32 v7, v29, v114, -v7
	v_mul_f32_e32 v4, v27, v117
	v_mul_f32_e32 v5, v26, v117
	ds_write_b64 v110, v[6:7] offset:2688
	s_waitcnt vmcnt(0)
	v_mul_f32_e32 v6, v31, v113
	v_mul_f32_e32 v7, v30, v113
	v_fmac_f32_e32 v4, v26, v116
	v_fma_f32 v5, v27, v116, -v5
	v_fmac_f32_e32 v6, v30, v112
	v_fma_f32 v7, v31, v112, -v7
	ds_write2_b64 v3, v[4:5], v[6:7] offset0:188 offset1:244
	s_and_saveexec_b64 s[16:17], s[6:7]
	s_cbranch_execz .LBB0_3
; %bb.2:
	v_lshl_add_u64 v[0:1], s[4:5], 3, v[0:1]
	v_add_co_u32_e32 v10, vcc, 0x1000, v108
	global_load_dwordx2 v[4:5], v[0:1], off
	global_load_dwordx2 v[6:7], v[108:109], off offset:3136
	v_lshl_add_u64 v[0:1], s[2:3], 3, v[0:1]
	v_addc_co_u32_e32 v11, vcc, 0, v109, vcc
	global_load_dwordx2 v[0:1], v[0:1], off
	s_waitcnt vmcnt(1)
	v_mul_f32_e32 v12, v5, v7
	global_load_dwordx2 v[10:11], v[10:11], off offset:2400
	v_mul_f32_e32 v7, v4, v7
	v_fmac_f32_e32 v12, v4, v6
	v_fma_f32 v13, v5, v6, -v7
	ds_write_b64 v110, v[12:13] offset:3136
	s_waitcnt vmcnt(0)
	v_mul_f32_e32 v4, v1, v11
	v_mul_f32_e32 v5, v0, v11
	v_fmac_f32_e32 v4, v0, v10
	v_fma_f32 v5, v1, v10, -v5
	ds_write_b64 v110, v[4:5] offset:6496
.LBB0_3:
	s_or_b64 exec, exec, s[16:17]
	v_add_u32_e32 v0, 0x800, v110
	s_waitcnt lgkmcnt(0)
	; wave barrier
	s_waitcnt lgkmcnt(0)
	ds_read2_b64 v[16:19], v110 offset1:56
	ds_read2_b64 v[4:7], v0 offset0:80 offset1:164
	ds_read2_b64 v[24:27], v2 offset0:92 offset1:148
	;; [unrolled: 1-line block ×6, first 2 shown]
                                        ; implicit-def: $vgpr28
                                        ; implicit-def: $vgpr30
	s_and_saveexec_b64 s[2:3], s[6:7]
	s_cbranch_execz .LBB0_5
; %bb.4:
	ds_read_b64 v[28:29], v110 offset:3136
	ds_read_b64 v[30:31], v110 offset:6496
.LBB0_5:
	s_or_b64 exec, exec, s[2:3]
	s_mov_b64 s[2:3], 0x70
	s_load_dwordx2 s[0:1], s[0:1], 0x8
	v_lshl_add_u64 v[148:149], v[126:127], 0, s[2:3]
	s_mov_b64 s[2:3], 0xa8
	v_lshl_add_u64 v[32:33], v[126:127], 0, 56
	v_lshl_add_u64 v[36:37], v[126:127], 0, s[2:3]
	s_mov_b64 s[2:3], 0xe0
	s_waitcnt lgkmcnt(0)
	v_pk_add_f32 v[42:43], v[16:17], v[6:7] neg_lo:[0,1] neg_hi:[0,1]
	v_pk_add_f32 v[24:25], v[18:19], v[24:25] neg_lo:[0,1] neg_hi:[0,1]
	v_lshl_add_u64 v[34:35], v[126:127], 0, s[2:3]
	s_mov_b64 s[2:3], 0x188
	v_pk_add_f32 v[26:27], v[12:13], v[26:27] neg_lo:[0,1] neg_hi:[0,1]
	v_pk_add_f32 v[20:21], v[14:15], v[20:21] neg_lo:[0,1] neg_hi:[0,1]
	;; [unrolled: 1-line block ×3, first 2 shown]
	v_lshlrev_b32_e32 v159, 4, v126
	v_pk_fma_f32 v[40:41], v[16:17], 2.0, v[42:43] op_sel_hi:[1,0,1] neg_lo:[0,0,1] neg_hi:[0,0,1]
	v_lshlrev_b32_e32 v161, 4, v32
	v_pk_fma_f32 v[22:23], v[18:19], 2.0, v[24:25] op_sel_hi:[1,0,1] neg_lo:[0,0,1] neg_hi:[0,0,1]
	v_lshlrev_b32_e32 v33, 1, v126
	v_lshl_add_u64 v[38:39], v[126:127], 0, s[2:3]
	v_pk_add_f32 v[46:47], v[10:11], v[0:1] neg_lo:[0,1] neg_hi:[0,1]
	v_pk_add_f32 v[6:7], v[4:5], v[2:3] neg_lo:[0,1] neg_hi:[0,1]
	;; [unrolled: 1-line block ×3, first 2 shown]
	s_waitcnt lgkmcnt(0)
	; wave barrier
	ds_write_b128 v159, v[40:43]
	ds_write_b128 v161, v[22:25]
	v_lshlrev_b32_e32 v162, 4, v148
	v_pk_fma_f32 v[24:25], v[12:13], 2.0, v[26:27] op_sel_hi:[1,0,1] neg_lo:[0,0,1] neg_hi:[0,0,1]
	v_lshlrev_b32_e32 v164, 4, v36
	v_pk_fma_f32 v[18:19], v[14:15], 2.0, v[20:21] op_sel_hi:[1,0,1] neg_lo:[0,0,1] neg_hi:[0,0,1]
	;; [unrolled: 2-line block ×3, first 2 shown]
	v_pk_fma_f32 v[0:1], v[28:29], 2.0, v[2:3] op_sel_hi:[1,0,1] neg_lo:[0,0,1] neg_hi:[0,0,1]
	v_lshlrev_b32_e32 v35, 1, v32
	v_lshlrev_b32_e32 v37, 1, v148
	ds_write_b128 v162, v[24:27]
	v_lshlrev_b32_e32 v39, 1, v36
	ds_write_b128 v164, v[18:21]
	;; [unrolled: 2-line block ×3, first 2 shown]
	v_add_u32_e32 v166, 0x230, v33
	v_pk_fma_f32 v[44:45], v[10:11], 2.0, v[46:47] op_sel_hi:[1,0,1] neg_lo:[0,0,1] neg_hi:[0,0,1]
	v_lshlrev_b32_e32 v8, 3, v33
	v_add_u32_e32 v167, 0x2a0, v33
	v_pk_fma_f32 v[4:5], v[4:5], 2.0, v[6:7] op_sel_hi:[1,0,1] neg_lo:[0,0,1] neg_hi:[0,0,1]
	v_lshlrev_b32_e32 v163, 4, v38
	ds_write_b128 v8, v[44:47] offset:4480
	ds_write_b128 v8, v[4:7] offset:5376
	s_and_saveexec_b64 s[2:3], s[6:7]
	s_cbranch_execz .LBB0_7
; %bb.6:
	ds_write_b128 v163, v[0:3]
.LBB0_7:
	s_or_b64 exec, exec, s[2:3]
	v_add_u32_e32 v4, 0x800, v110
	v_add_u32_e32 v12, 0xc00, v110
	;; [unrolled: 1-line block ×4, first 2 shown]
	s_waitcnt lgkmcnt(0)
	; wave barrier
	s_waitcnt lgkmcnt(0)
	ds_read2_b64 v[8:11], v110 offset1:56
	ds_read2_b64 v[4:7], v4 offset0:80 offset1:164
	ds_read2_b64 v[28:31], v12 offset0:92 offset1:148
	;; [unrolled: 1-line block ×6, first 2 shown]
	s_and_saveexec_b64 s[2:3], s[6:7]
	s_cbranch_execz .LBB0_9
; %bb.8:
	ds_read_b64 v[0:1], v110 offset:3136
	ds_read_b64 v[2:3], v110 offset:6496
.LBB0_9:
	s_or_b64 exec, exec, s[2:3]
	v_and_b32_e32 v127, 1, v126
	v_lshlrev_b32_e32 v41, 3, v127
	global_load_dwordx2 v[144:145], v41, s[0:1]
	s_movk_i32 s3, 0xfc
	s_movk_i32 s4, 0x1fc
	;; [unrolled: 1-line block ×4, first 2 shown]
	v_and_or_b32 v42, v35, s3, v127
	v_and_or_b32 v43, v37, s4, v127
	;; [unrolled: 1-line block ×6, first 2 shown]
	v_lshlrev_b32_e32 v175, 3, v42
	v_lshlrev_b32_e32 v174, 3, v43
	;; [unrolled: 1-line block ×6, first 2 shown]
	s_movk_i32 s2, 0x7c
	v_and_or_b32 v41, v33, s2, v127
	v_lshlrev_b32_e32 v176, 3, v41
	v_lshlrev_b32_e32 v111, 1, v38
	s_waitcnt lgkmcnt(0)
	; wave barrier
	s_waitcnt vmcnt(0) lgkmcnt(0)
	v_pk_mul_f32 v[42:43], v[2:3], v[144:145] op_sel:[1,0]
	v_pk_mul_f32 v[44:45], v[6:7], v[144:145] op_sel:[0,1]
	;; [unrolled: 1-line block ×8, first 2 shown]
	v_pk_fma_f32 v[58:59], v[2:3], v[144:145], v[42:43] op_sel:[0,0,1] op_sel_hi:[1,1,0] neg_lo:[0,0,1] neg_hi:[0,0,1]
	v_pk_fma_f32 v[2:3], v[2:3], v[144:145], v[42:43] op_sel:[0,0,1] op_sel_hi:[0,1,0]
	v_pk_fma_f32 v[42:43], v[6:7], v[144:145], v[44:45] op_sel:[0,0,1] op_sel_hi:[1,1,0] neg_lo:[0,0,1] neg_hi:[0,0,1]
	v_pk_fma_f32 v[6:7], v[6:7], v[144:145], v[44:45] op_sel:[0,0,1] op_sel_hi:[1,0,0]
	;; [unrolled: 2-line block ×8, first 2 shown]
	v_mov_b32_e32 v59, v3
	v_mov_b32_e32 v43, v7
	;; [unrolled: 1-line block ×8, first 2 shown]
	v_pk_add_f32 v[30:31], v[0:1], v[58:59] neg_lo:[0,1] neg_hi:[0,1]
	v_pk_add_f32 v[2:3], v[8:9], v[42:43] neg_lo:[0,1] neg_hi:[0,1]
	;; [unrolled: 1-line block ×8, first 2 shown]
	v_pk_fma_f32 v[28:29], v[0:1], 2.0, v[30:31] op_sel_hi:[1,0,1] neg_lo:[0,0,1] neg_hi:[0,0,1]
	v_pk_fma_f32 v[0:1], v[8:9], 2.0, v[2:3] op_sel_hi:[1,0,1] neg_lo:[0,0,1] neg_hi:[0,0,1]
	;; [unrolled: 1-line block ×8, first 2 shown]
	ds_write2_b64 v176, v[0:1], v[2:3] offset1:2
	ds_write2_b64 v175, v[8:9], v[6:7] offset1:2
	;; [unrolled: 1-line block ×7, first 2 shown]
	s_and_saveexec_b64 s[2:3], s[6:7]
	s_cbranch_execz .LBB0_11
; %bb.10:
	s_movk_i32 s4, 0x37c
	v_and_or_b32 v0, v111, s4, v127
	v_lshlrev_b32_e32 v0, 3, v0
	ds_write2_b64 v0, v[28:29], v[30:31] offset1:2
.LBB0_11:
	s_or_b64 exec, exec, s[2:3]
	v_add_u32_e32 v0, 0x800, v110
	v_add_u32_e32 v8, 0xc00, v110
	;; [unrolled: 1-line block ×4, first 2 shown]
	s_waitcnt lgkmcnt(0)
	; wave barrier
	s_waitcnt lgkmcnt(0)
	ds_read2_b64 v[4:7], v110 offset1:56
	ds_read2_b64 v[0:3], v0 offset0:80 offset1:164
	ds_read2_b64 v[24:27], v8 offset0:92 offset1:148
	;; [unrolled: 1-line block ×6, first 2 shown]
	s_and_saveexec_b64 s[2:3], s[6:7]
	s_cbranch_execz .LBB0_13
; %bb.12:
	ds_read_b64 v[28:29], v110 offset:3136
	ds_read_b64 v[30:31], v110 offset:6496
.LBB0_13:
	s_or_b64 exec, exec, s[2:3]
	v_and_b32_e32 v135, 3, v126
	v_lshlrev_b32_e32 v38, 3, v135
	global_load_dwordx2 v[146:147], v38, s[0:1] offset:16
	s_movk_i32 s4, 0x1f8
	s_movk_i32 s5, 0x3f8
	s_movk_i32 s16, 0x2f8
	v_and_or_b32 v38, v39, s4, v135
	v_and_or_b32 v39, v40, s5, v135
	v_and_or_b32 v40, v166, s16, v135
	v_and_or_b32 v41, v167, s5, v135
	v_lshlrev_b32_e32 v186, 3, v38
	v_lshlrev_b32_e32 v183, 3, v39
	;; [unrolled: 1-line block ×4, first 2 shown]
	s_movk_i32 s2, 0x78
	s_movk_i32 s3, 0xf8
	v_and_or_b32 v33, v33, s2, v135
	v_and_or_b32 v35, v35, s3, v135
	;; [unrolled: 1-line block ×3, first 2 shown]
	v_lshlrev_b32_e32 v191, 3, v33
	v_lshlrev_b32_e32 v189, 3, v35
	;; [unrolled: 1-line block ×3, first 2 shown]
	s_waitcnt lgkmcnt(0)
	; wave barrier
	s_waitcnt vmcnt(0) lgkmcnt(0)
	v_pk_mul_f32 v[38:39], v[30:31], v[146:147] op_sel:[1,0]
	v_pk_mul_f32 v[40:41], v[2:3], v[146:147] op_sel:[0,1]
	;; [unrolled: 1-line block ×8, first 2 shown]
	v_pk_fma_f32 v[54:55], v[30:31], v[146:147], v[38:39] op_sel:[0,0,1] op_sel_hi:[1,1,0] neg_lo:[0,0,1] neg_hi:[0,0,1]
	v_pk_fma_f32 v[30:31], v[30:31], v[146:147], v[38:39] op_sel:[0,0,1] op_sel_hi:[0,1,0]
	v_pk_fma_f32 v[38:39], v[2:3], v[146:147], v[40:41] op_sel:[0,0,1] op_sel_hi:[1,1,0] neg_lo:[0,0,1] neg_hi:[0,0,1]
	v_pk_fma_f32 v[2:3], v[2:3], v[146:147], v[40:41] op_sel:[0,0,1] op_sel_hi:[1,0,0]
	v_pk_fma_f32 v[40:41], v[24:25], v[146:147], v[42:43] op_sel:[0,0,1] op_sel_hi:[1,1,0] neg_lo:[0,0,1] neg_hi:[0,0,1]
	v_pk_fma_f32 v[24:25], v[24:25], v[146:147], v[42:43] op_sel:[0,0,1] op_sel_hi:[1,0,0]
	v_pk_fma_f32 v[42:43], v[26:27], v[146:147], v[44:45] op_sel:[0,0,1] op_sel_hi:[1,1,0] neg_lo:[0,0,1] neg_hi:[0,0,1]
	v_pk_fma_f32 v[26:27], v[26:27], v[146:147], v[44:45] op_sel:[0,0,1] op_sel_hi:[1,0,0]
	v_pk_fma_f32 v[44:45], v[20:21], v[146:147], v[46:47] op_sel:[0,0,1] op_sel_hi:[1,1,0] neg_lo:[0,0,1] neg_hi:[0,0,1]
	v_pk_fma_f32 v[20:21], v[20:21], v[146:147], v[46:47] op_sel:[0,0,1] op_sel_hi:[1,0,0]
	v_pk_fma_f32 v[46:47], v[22:23], v[146:147], v[48:49] op_sel:[0,0,1] op_sel_hi:[1,1,0] neg_lo:[0,0,1] neg_hi:[0,0,1]
	v_pk_fma_f32 v[22:23], v[22:23], v[146:147], v[48:49] op_sel:[0,0,1] op_sel_hi:[1,0,0]
	v_pk_fma_f32 v[48:49], v[16:17], v[146:147], v[50:51] op_sel:[0,0,1] op_sel_hi:[1,1,0] neg_lo:[0,0,1] neg_hi:[0,0,1]
	v_pk_fma_f32 v[16:17], v[16:17], v[146:147], v[50:51] op_sel:[0,0,1] op_sel_hi:[1,0,0]
	v_pk_fma_f32 v[50:51], v[18:19], v[146:147], v[52:53] op_sel:[0,0,1] op_sel_hi:[1,1,0] neg_lo:[0,0,1] neg_hi:[0,0,1]
	v_pk_fma_f32 v[18:19], v[18:19], v[146:147], v[52:53] op_sel:[0,0,1] op_sel_hi:[1,0,0]
	v_mov_b32_e32 v39, v3
	v_mov_b32_e32 v55, v31
	;; [unrolled: 1-line block ×8, first 2 shown]
	v_pk_add_f32 v[2:3], v[4:5], v[38:39] neg_lo:[0,1] neg_hi:[0,1]
	v_pk_add_f32 v[70:71], v[28:29], v[54:55] neg_lo:[0,1] neg_hi:[0,1]
	;; [unrolled: 1-line block ×8, first 2 shown]
	v_pk_fma_f32 v[4:5], v[4:5], 2.0, v[2:3] op_sel_hi:[1,0,1] neg_lo:[0,0,1] neg_hi:[0,0,1]
	v_pk_fma_f32 v[6:7], v[6:7], 2.0, v[16:17] op_sel_hi:[1,0,1] neg_lo:[0,0,1] neg_hi:[0,0,1]
	;; [unrolled: 1-line block ×7, first 2 shown]
	ds_write2_b64 v191, v[4:5], v[2:3] offset1:4
	ds_write2_b64 v189, v[6:7], v[16:17] offset1:4
	;; [unrolled: 1-line block ×7, first 2 shown]
	s_and_saveexec_b64 s[2:3], s[6:7]
	s_cbranch_execz .LBB0_15
; %bb.14:
	s_movk_i32 s4, 0x378
	v_and_or_b32 v0, v111, s4, v135
	v_lshlrev_b32_e32 v2, 3, v0
	v_pk_fma_f32 v[0:1], v[28:29], 2.0, v[70:71] op_sel_hi:[1,0,1] neg_lo:[0,0,1] neg_hi:[0,0,1]
	ds_write2_b64 v2, v[0:1], v[70:71] offset1:4
.LBB0_15:
	s_or_b64 exec, exec, s[2:3]
	v_and_b32_e32 v33, 7, v126
	v_lshlrev_b32_e32 v0, 4, v33
	s_waitcnt lgkmcnt(0)
	; wave barrier
	s_waitcnt lgkmcnt(0)
	global_load_dwordx4 v[12:15], v0, s[0:1] offset:48
	v_lshrrev_b32_e32 v16, 3, v126
	v_lshrrev_b32_e32 v17, 3, v32
	;; [unrolled: 1-line block ×5, first 2 shown]
	v_add_u32_e32 v94, 0x400, v110
	v_add_u32_e32 v0, 0x800, v110
	ds_read_b64 v[10:11], v110 offset:6272
	ds_read2_b64 v[2:5], v110 offset0:112 offset1:168
	v_add_u32_e32 v1, 0x1000, v110
	ds_read2_b64 v[6:9], v110 offset1:56
	v_mul_u32_u24_e32 v38, 24, v16
	v_mul_u32_u24_e32 v39, 24, v17
	v_mul_u32_u24_e32 v40, 24, v18
	v_mul_u32_u24_e32 v41, 24, v19
	v_mul_u32_u24_e32 v42, 24, v20
	ds_read2_b64 v[16:19], v94 offset0:96 offset1:152
	ds_read2_b64 v[20:23], v0 offset0:192 offset1:248
	ds_read2_b64 v[24:27], v1 offset0:160 offset1:216
	ds_read2_b64 v[28:31], v0 offset0:80 offset1:136
	ds_read2_b64 v[34:37], v1 offset0:48 offset1:104
	v_or_b32_e32 v38, v38, v33
	v_or_b32_e32 v39, v39, v33
	;; [unrolled: 1-line block ×5, first 2 shown]
	v_lshlrev_b32_e32 v190, 3, v38
	v_lshlrev_b32_e32 v188, 3, v39
	;; [unrolled: 1-line block ×4, first 2 shown]
	s_mov_b32 s2, 0x3f5db3d7
	s_waitcnt lgkmcnt(0)
	; wave barrier
	s_waitcnt lgkmcnt(0)
	v_lshlrev_b32_e32 v178, 3, v33
	s_mov_b32 s4, 0x3e9e377a
	s_mov_b32 s16, 0x3f167918
                                        ; implicit-def: $vgpr102
                                        ; implicit-def: $vgpr106
                                        ; implicit-def: $vgpr154
                                        ; implicit-def: $vgpr156
                                        ; implicit-def: $vgpr158
                                        ; implicit-def: $vgpr160
	s_waitcnt vmcnt(0)
	v_pk_mul_f32 v[38:39], v[22:23], v[12:13] op_sel:[0,1]
	v_mov_b32_e32 v40, v15
	v_pk_mul_f32 v[42:43], v[20:21], v[12:13] op_sel:[0,1]
	v_pk_mul_f32 v[44:45], v[30:31], v[12:13] op_sel:[0,1]
	;; [unrolled: 1-line block ×4, first 2 shown]
	v_pk_fma_f32 v[50:51], v[22:23], v[12:13], v[38:39] op_sel:[0,0,1] op_sel_hi:[1,1,0] neg_lo:[0,0,1] neg_hi:[0,0,1]
	v_pk_fma_f32 v[22:23], v[22:23], v[12:13], v[38:39] op_sel:[0,0,1] op_sel_hi:[1,0,0]
	v_pk_mul_f32 v[38:39], v[10:11], v[40:41] op_sel_hi:[1,0]
	v_pk_fma_f32 v[52:53], v[20:21], v[12:13], v[42:43] op_sel:[0,0,1] op_sel_hi:[1,1,0] neg_lo:[0,0,1] neg_hi:[0,0,1]
	v_pk_fma_f32 v[20:21], v[20:21], v[12:13], v[42:43] op_sel:[0,0,1] op_sel_hi:[1,0,0]
	v_pk_mul_f32 v[42:43], v[26:27], v[40:41] op_sel_hi:[1,0]
	;; [unrolled: 3-line block ×5, first 2 shown]
	v_mov_b32_e32 v59, v19
	v_pk_fma_f32 v[18:19], v[34:35], v[14:15], v[40:41] op_sel:[0,0,1] op_sel_hi:[1,1,0] neg_lo:[0,0,1] neg_hi:[0,0,1]
	v_pk_fma_f32 v[34:35], v[34:35], v[14:15], v[40:41] op_sel:[0,0,1] op_sel_hi:[1,0,0]
	v_mov_b32_e32 v51, v23
	v_mov_b32_e32 v19, v35
	v_pk_add_f32 v[34:35], v[6:7], v[58:59]
	v_pk_fma_f32 v[22:23], v[10:11], v[14:15], v[38:39] op_sel:[0,0,1] op_sel_hi:[1,1,0] neg_lo:[0,0,1] neg_hi:[0,0,1]
	v_pk_fma_f32 v[10:11], v[10:11], v[14:15], v[38:39] op_sel:[0,0,1] op_sel_hi:[1,0,0]
	v_pk_add_f32 v[34:35], v[34:35], v[18:19]
	v_pk_add_f32 v[38:39], v[58:59], v[18:19]
	v_pk_add_f32 v[18:19], v[58:59], v[18:19] neg_lo:[0,1] neg_hi:[0,1]
	v_pk_fma_f32 v[6:7], v[38:39], 0.5, v[6:7] op_sel_hi:[1,0,1] neg_lo:[1,0,0] neg_hi:[1,0,0]
	v_pk_mul_f32 v[18:19], v[18:19], s[2:3] op_sel_hi:[1,0]
	v_mov_b32_e32 v57, v29
	v_pk_fma_f32 v[28:29], v[36:37], v[14:15], v[46:47] op_sel:[0,0,1] op_sel_hi:[1,1,0] neg_lo:[0,0,1] neg_hi:[0,0,1]
	v_pk_fma_f32 v[36:37], v[36:37], v[14:15], v[46:47] op_sel:[0,0,1] op_sel_hi:[1,0,0]
	v_pk_add_f32 v[38:39], v[6:7], v[18:19] op_sel:[0,1] op_sel_hi:[1,0]
	v_pk_add_f32 v[6:7], v[6:7], v[18:19] op_sel:[0,1] op_sel_hi:[1,0] neg_lo:[0,1] neg_hi:[0,1]
	v_mov_b32_e32 v29, v37
	v_mov_b32_e32 v19, v7
	;; [unrolled: 1-line block ×3, first 2 shown]
	ds_write_b64 v190, v[6:7] offset:128
	v_pk_add_f32 v[6:7], v[56:57], v[28:29]
	v_pk_add_f32 v[36:37], v[8:9], v[56:57]
	v_pk_fma_f32 v[6:7], v[6:7], 0.5, v[8:9] op_sel_hi:[1,0,1] neg_lo:[1,0,0] neg_hi:[1,0,0]
	v_pk_add_f32 v[8:9], v[56:57], v[28:29] neg_lo:[0,1] neg_hi:[0,1]
	v_mov_b32_e32 v18, v38
	v_pk_mul_f32 v[8:9], v[8:9], s[2:3] op_sel_hi:[1,0]
	v_mov_b32_e32 v55, v31
	v_pk_fma_f32 v[30:31], v[24:25], v[14:15], v[44:45] op_sel:[0,0,1] op_sel_hi:[1,1,0] neg_lo:[0,0,1] neg_hi:[0,0,1]
	v_pk_fma_f32 v[24:25], v[24:25], v[14:15], v[44:45] op_sel:[0,0,1] op_sel_hi:[1,0,0]
	ds_write2_b64 v190, v[34:35], v[18:19] offset1:8
	v_pk_add_f32 v[18:19], v[6:7], v[8:9] op_sel:[0,1] op_sel_hi:[1,0]
	v_pk_add_f32 v[6:7], v[6:7], v[8:9] op_sel:[0,1] op_sel_hi:[1,0] neg_lo:[0,1] neg_hi:[0,1]
	v_mov_b32_e32 v31, v25
	v_mov_b32_e32 v9, v7
	;; [unrolled: 1-line block ×3, first 2 shown]
	ds_write_b64 v188, v[6:7] offset:128
	v_pk_add_f32 v[6:7], v[54:55], v[30:31]
	v_pk_add_f32 v[24:25], v[2:3], v[54:55]
	v_pk_fma_f32 v[2:3], v[6:7], 0.5, v[2:3] op_sel_hi:[1,0,1] neg_lo:[1,0,0] neg_hi:[1,0,0]
	v_pk_add_f32 v[6:7], v[54:55], v[30:31] neg_lo:[0,1] neg_hi:[0,1]
	v_pk_add_f32 v[36:37], v[36:37], v[28:29]
	v_mov_b32_e32 v8, v18
	v_pk_mul_f32 v[6:7], v[6:7], s[2:3] op_sel_hi:[1,0]
	v_mov_b32_e32 v53, v21
	v_pk_fma_f32 v[20:21], v[26:27], v[14:15], v[42:43] op_sel:[0,0,1] op_sel_hi:[1,1,0] neg_lo:[0,0,1] neg_hi:[0,0,1]
	v_pk_fma_f32 v[26:27], v[26:27], v[14:15], v[42:43] op_sel:[0,0,1] op_sel_hi:[1,0,0]
	ds_write2_b64 v188, v[36:37], v[8:9] offset1:8
	v_pk_add_f32 v[8:9], v[2:3], v[6:7] op_sel:[0,1] op_sel_hi:[1,0]
	v_pk_add_f32 v[2:3], v[2:3], v[6:7] op_sel:[0,1] op_sel_hi:[1,0] neg_lo:[0,1] neg_hi:[0,1]
	v_mov_b32_e32 v21, v27
	v_mov_b32_e32 v7, v3
	;; [unrolled: 1-line block ×3, first 2 shown]
	ds_write_b64 v185, v[2:3] offset:128
	v_pk_add_f32 v[2:3], v[52:53], v[20:21]
	v_pk_add_f32 v[26:27], v[4:5], v[52:53]
	v_pk_fma_f32 v[2:3], v[2:3], 0.5, v[4:5] op_sel_hi:[1,0,1] neg_lo:[1,0,0] neg_hi:[1,0,0]
	v_pk_add_f32 v[4:5], v[52:53], v[20:21] neg_lo:[0,1] neg_hi:[0,1]
	v_pk_add_f32 v[24:25], v[24:25], v[30:31]
	v_mov_b32_e32 v6, v8
	v_pk_mul_f32 v[4:5], v[4:5], s[2:3] op_sel_hi:[1,0]
	ds_write2_b64 v185, v[24:25], v[6:7] offset1:8
	v_pk_add_f32 v[6:7], v[2:3], v[4:5] op_sel:[0,1] op_sel_hi:[1,0]
	v_pk_add_f32 v[2:3], v[2:3], v[4:5] op_sel:[0,1] op_sel_hi:[1,0] neg_lo:[0,1] neg_hi:[0,1]
	v_mov_b32_e32 v23, v11
	v_pk_add_f32 v[26:27], v[26:27], v[20:21]
	v_mov_b32_e32 v4, v6
	v_mov_b32_e32 v5, v3
	;; [unrolled: 1-line block ×3, first 2 shown]
	ds_write2_b64 v182, v[26:27], v[4:5] offset1:8
	ds_write_b64 v182, v[2:3] offset:128
	v_pk_add_f32 v[2:3], v[50:51], v[22:23]
	v_pk_add_f32 v[4:5], v[50:51], v[22:23] neg_lo:[0,1] neg_hi:[0,1]
	v_pk_fma_f32 v[2:3], v[2:3], 0.5, v[16:17] op_sel_hi:[1,0,1] neg_lo:[1,0,0] neg_hi:[1,0,0]
	v_pk_mul_f32 v[4:5], v[4:5], s[2:3] op_sel_hi:[1,0]
	s_movk_i32 s2, 0xab
	v_pk_add_f32 v[6:7], v[2:3], v[4:5] op_sel:[0,1] op_sel_hi:[1,0]
	v_pk_add_f32 v[2:3], v[2:3], v[4:5] op_sel:[0,1] op_sel_hi:[1,0] neg_lo:[0,1] neg_hi:[0,1]
	v_mov_b32_e32 v4, v6
	v_mov_b32_e32 v5, v3
	;; [unrolled: 1-line block ×3, first 2 shown]
	ds_write_b64 v178, v[2:3] offset:128
	v_mul_lo_u16_sdwa v2, v148, s2 dst_sel:DWORD dst_unused:UNUSED_PAD src0_sel:BYTE_0 src1_sel:DWORD
	v_lshrrev_b16_e32 v6, 12, v2
	v_pk_add_f32 v[10:11], v[16:17], v[50:51]
	v_mul_lo_u16_e32 v2, 24, v6
	v_pk_add_f32 v[10:11], v[10:11], v[22:23]
	v_sub_u16_e32 v2, v148, v2
	ds_write2_b64 v178, v[10:11], v[4:5] offset1:8
	v_and_b32_e32 v10, 0xff, v2
	v_lshlrev_b32_e32 v2, 5, v10
	s_waitcnt lgkmcnt(0)
	; wave barrier
	s_waitcnt lgkmcnt(0)
	global_load_dwordx4 v[56:59], v2, s[0:1] offset:176
	global_load_dwordx4 v[52:55], v2, s[0:1] offset:192
	v_mul_lo_u16_sdwa v2, v32, s2 dst_sel:DWORD dst_unused:UNUSED_PAD src0_sel:BYTE_0 src1_sel:DWORD
	v_lshrrev_b16_e32 v7, 12, v2
	v_mul_lo_u16_e32 v2, 24, v7
	v_sub_u16_e32 v2, v32, v2
	v_and_b32_e32 v8, 0xff, v2
	v_lshlrev_b32_e32 v2, 5, v8
	global_load_dwordx4 v[40:43], v2, s[0:1] offset:176
	global_load_dwordx4 v[36:39], v2, s[0:1] offset:192
	v_mul_lo_u16_sdwa v2, v126, s2 dst_sel:DWORD dst_unused:UNUSED_PAD src0_sel:BYTE_0 src1_sel:DWORD
	v_lshrrev_b16_e32 v9, 12, v2
	v_mul_lo_u16_e32 v2, 24, v9
	v_sub_u16_e32 v2, v126, v2
	v_and_b32_e32 v11, 0xff, v2
	v_lshlrev_b32_e32 v2, 5, v11
	global_load_dwordx4 v[26:29], v2, s[0:1] offset:192
	global_load_dwordx4 v[32:35], v2, s[0:1] offset:176
	v_mul_u32_u24_e32 v9, 0x78, v9
	v_mul_u32_u24_e32 v7, 0x78, v7
	v_add_lshl_u32 v192, v9, v11, 3
	v_add_lshl_u32 v184, v7, v8, 3
	v_mul_u32_u24_e32 v11, 0x78, v6
	ds_read2_b64 v[6:9], v94 offset0:96 offset1:152
	ds_read2_b64 v[2:5], v110 offset0:112 offset1:168
	v_add_lshl_u32 v179, v11, v10, 3
	ds_read2_b64 v[16:19], v0 offset0:192 offset1:248
	ds_read2_b64 v[20:23], v1 offset0:48 offset1:104
	ds_read_b64 v[10:11], v110 offset:6272
	s_mov_b32 s2, 0x3f737871
	s_waitcnt vmcnt(5) lgkmcnt(4)
	v_pk_mul_f32 v[24:25], v[8:9], v[56:57] op_sel:[0,1]
	s_nop 0
	v_pk_fma_f32 v[30:31], v[8:9], v[56:57], v[24:25] op_sel:[0,0,1] op_sel_hi:[1,1,0] neg_lo:[0,0,1] neg_hi:[0,0,1]
	v_pk_fma_f32 v[8:9], v[8:9], v[56:57], v[24:25] op_sel:[0,0,1] op_sel_hi:[1,0,0]
	s_waitcnt vmcnt(3)
	v_pk_mul_f32 v[76:77], v[6:7], v[40:41] op_sel:[0,1]
	v_mov_b32_e32 v8, v59
	s_waitcnt lgkmcnt(2)
	v_pk_mul_f32 v[24:25], v[16:17], v[8:9] op_sel_hi:[1,0]
	v_mov_b32_e32 v8, v55
	v_pk_fma_f32 v[48:49], v[16:17], v[58:59], v[24:25] op_sel:[0,0,1] op_sel_hi:[1,1,0] neg_lo:[0,0,1] neg_hi:[0,0,1]
	v_pk_fma_f32 v[16:17], v[16:17], v[58:59], v[24:25] op_sel:[0,0,1] op_sel_hi:[1,0,0]
	s_waitcnt lgkmcnt(1)
	v_pk_mul_f32 v[24:25], v[22:23], v[52:53] op_sel:[0,1]
	v_mov_b32_e32 v31, v9
	v_pk_fma_f32 v[50:51], v[22:23], v[52:53], v[24:25] op_sel:[0,0,1] op_sel_hi:[1,1,0] neg_lo:[0,0,1] neg_hi:[0,0,1]
	v_pk_fma_f32 v[22:23], v[22:23], v[52:53], v[24:25] op_sel:[0,0,1] op_sel_hi:[1,0,0]
	s_waitcnt lgkmcnt(0)
	v_pk_mul_f32 v[24:25], v[10:11], v[8:9] op_sel_hi:[1,0]
	v_mov_b32_e32 v49, v17
	v_pk_fma_f32 v[60:61], v[10:11], v[54:55], v[24:25] op_sel:[0,0,1] op_sel_hi:[1,1,0] neg_lo:[0,0,1] neg_hi:[0,0,1]
	v_pk_fma_f32 v[10:11], v[10:11], v[54:55], v[24:25] op_sel:[0,0,1] op_sel_hi:[1,0,0]
	v_mov_b32_e32 v51, v23
	v_mov_b32_e32 v61, v11
	;; [unrolled: 1-line block ×10, first 2 shown]
	v_pk_add_f32 v[62:63], v[8:9], v[10:11] neg_lo:[0,1] neg_hi:[0,1]
	v_pk_add_f32 v[8:9], v[8:9], v[16:17] neg_lo:[0,1] neg_hi:[0,1]
	;; [unrolled: 1-line block ×4, first 2 shown]
	v_pk_add_f32 v[8:9], v[8:9], v[10:11]
	v_pk_add_f32 v[24:25], v[48:49], v[50:51]
	v_pk_mul_f32 v[16:17], v[8:9], s[4:5] op_sel_hi:[1,0]
	v_pk_add_f32 v[8:9], v[2:3], v[30:31]
	v_pk_fma_f32 v[24:25], v[24:25], 0.5, v[2:3] op_sel_hi:[1,0,1] neg_lo:[1,0,0] neg_hi:[1,0,0]
	v_pk_add_f32 v[8:9], v[8:9], v[48:49]
	v_pk_fma_f32 v[10:11], v[62:63], s[2:3], v[24:25] op_sel_hi:[1,0,1]
	v_pk_add_f32 v[8:9], v[8:9], v[50:51]
	v_pk_fma_f32 v[72:73], v[64:65], s[16:17], v[10:11] op_sel_hi:[1,0,1]
	v_pk_add_f32 v[66:67], v[8:9], v[60:61]
	v_pk_fma_f32 v[8:9], v[62:63], s[2:3], v[24:25] op_sel_hi:[1,0,1] neg_lo:[1,0,0] neg_hi:[1,0,0]
	v_pk_fma_f32 v[78:79], v[6:7], v[40:41], v[76:77] op_sel:[0,0,1] op_sel_hi:[1,1,0] neg_lo:[0,0,1] neg_hi:[0,0,1]
	v_pk_fma_f32 v[74:75], v[64:65], s[16:17], v[8:9] op_sel_hi:[1,0,1] neg_lo:[1,0,0] neg_hi:[1,0,0]
	v_mov_b32_e32 v9, v73
	v_mov_b32_e32 v8, v74
	v_pk_add_f32 v[68:69], v[16:17], v[8:9] op_sel:[1,0] op_sel_hi:[0,1]
	ds_read2_b64 v[8:11], v110 offset1:56
	ds_read2_b64 v[22:25], v0 offset0:80 offset1:136
	ds_read2_b64 v[44:47], v1 offset0:160 offset1:216
	v_pk_fma_f32 v[6:7], v[6:7], v[40:41], v[76:77] op_sel:[0,0,1] op_sel_hi:[1,0,0]
	s_waitcnt lgkmcnt(0)
	v_mov_b32_e32 v6, v43
	v_mov_b32_e32 v79, v7
	v_pk_mul_f32 v[6:7], v[24:25], v[6:7] op_sel_hi:[1,0]
	; wave barrier
	s_nop 0
	v_pk_fma_f32 v[76:77], v[24:25], v[42:43], v[6:7] op_sel:[0,0,1] op_sel_hi:[1,1,0] neg_lo:[0,0,1] neg_hi:[0,0,1]
	v_pk_fma_f32 v[6:7], v[24:25], v[42:43], v[6:7] op_sel:[0,0,1] op_sel_hi:[1,0,0]
	v_mov_b32_e32 v73, v75
	v_mov_b32_e32 v77, v7
	s_waitcnt vmcnt(2)
	v_pk_mul_f32 v[6:7], v[20:21], v[36:37] op_sel:[0,1]
	s_nop 0
	v_pk_fma_f32 v[24:25], v[20:21], v[36:37], v[6:7] op_sel:[0,0,1] op_sel_hi:[1,1,0] neg_lo:[0,0,1] neg_hi:[0,0,1]
	v_pk_fma_f32 v[6:7], v[20:21], v[36:37], v[6:7] op_sel:[0,0,1] op_sel_hi:[1,0,0]
	s_nop 0
	v_mov_b32_e32 v6, v39
	v_mov_b32_e32 v25, v7
	v_pk_mul_f32 v[6:7], v[46:47], v[6:7] op_sel_hi:[1,0]
	s_nop 0
	v_pk_fma_f32 v[20:21], v[46:47], v[38:39], v[6:7] op_sel:[0,0,1] op_sel_hi:[1,1,0] neg_lo:[0,0,1] neg_hi:[0,0,1]
	v_pk_fma_f32 v[6:7], v[46:47], v[38:39], v[6:7] op_sel:[0,0,1] op_sel_hi:[1,0,0]
	s_waitcnt vmcnt(0)
	v_pk_mul_f32 v[46:47], v[4:5], v[32:33] op_sel:[0,1]
	v_mov_b32_e32 v21, v7
	v_pk_fma_f32 v[80:81], v[4:5], v[32:33], v[46:47] op_sel:[0,0,1] op_sel_hi:[1,1,0] neg_lo:[0,0,1] neg_hi:[0,0,1]
	v_pk_fma_f32 v[4:5], v[4:5], v[32:33], v[46:47] op_sel:[0,0,1] op_sel_hi:[1,0,0]
	v_pk_add_f32 v[6:7], v[10:11], v[78:79]
	v_mov_b32_e32 v4, v35
	v_mov_b32_e32 v81, v5
	v_pk_mul_f32 v[4:5], v[22:23], v[4:5] op_sel_hi:[1,0]
	v_pk_add_f32 v[6:7], v[6:7], v[76:77]
	v_pk_fma_f32 v[46:47], v[22:23], v[34:35], v[4:5] op_sel:[0,0,1] op_sel_hi:[1,1,0] neg_lo:[0,0,1] neg_hi:[0,0,1]
	v_pk_fma_f32 v[4:5], v[22:23], v[34:35], v[4:5] op_sel:[0,0,1] op_sel_hi:[1,0,0]
	v_pk_add_f32 v[6:7], v[6:7], v[24:25]
	v_mov_b32_e32 v47, v5
	v_pk_mul_f32 v[4:5], v[18:19], v[26:27] op_sel:[0,1]
	v_pk_add_f32 v[90:91], v[80:81], v[46:47] neg_lo:[0,1] neg_hi:[0,1]
	v_pk_fma_f32 v[22:23], v[18:19], v[26:27], v[4:5] op_sel:[0,0,1] op_sel_hi:[1,1,0] neg_lo:[0,0,1] neg_hi:[0,0,1]
	v_pk_fma_f32 v[4:5], v[18:19], v[26:27], v[4:5] op_sel:[0,0,1] op_sel_hi:[1,0,0]
	v_pk_add_f32 v[6:7], v[6:7], v[20:21]
	v_mov_b32_e32 v4, v29
	v_mov_b32_e32 v23, v5
	v_pk_mul_f32 v[4:5], v[44:45], v[4:5] op_sel_hi:[1,0]
	v_pk_add_f32 v[86:87], v[46:47], v[22:23] neg_lo:[0,1] neg_hi:[0,1]
	v_pk_fma_f32 v[18:19], v[44:45], v[28:29], v[4:5] op_sel:[0,0,1] op_sel_hi:[1,1,0] neg_lo:[0,0,1] neg_hi:[0,0,1]
	v_pk_fma_f32 v[4:5], v[44:45], v[28:29], v[4:5] op_sel:[0,0,1] op_sel_hi:[1,0,0]
	v_pk_add_f32 v[44:45], v[46:47], v[22:23]
	v_mov_b32_e32 v19, v5
	v_pk_add_f32 v[82:83], v[80:81], v[18:19] neg_lo:[0,1] neg_hi:[0,1]
	v_pk_fma_f32 v[44:45], v[44:45], 0.5, v[8:9] op_sel_hi:[1,0,1] neg_lo:[1,0,0] neg_hi:[1,0,0]
	v_pk_mul_f32 v[84:85], v[82:83], s[2:3] op_sel_hi:[1,0]
	v_pk_add_f32 v[92:93], v[18:19], v[22:23] neg_lo:[0,1] neg_hi:[0,1]
	v_pk_add_f32 v[4:5], v[8:9], v[80:81]
	v_pk_mul_f32 v[88:89], v[86:87], s[16:17] op_sel_hi:[1,0]
	v_pk_add_f32 v[90:91], v[90:91], v[92:93]
	v_pk_add_f32 v[92:93], v[44:45], v[84:85] op_sel:[0,1] op_sel_hi:[1,0]
	v_pk_add_f32 v[44:45], v[44:45], v[84:85] op_sel:[0,1] op_sel_hi:[1,0] neg_lo:[0,1] neg_hi:[0,1]
	v_pk_add_f32 v[4:5], v[4:5], v[46:47]
	v_pk_add_f32 v[44:45], v[44:45], v[88:89] op_sel:[0,1] op_sel_hi:[1,0] neg_lo:[0,1] neg_hi:[0,1]
	v_pk_add_f32 v[84:85], v[92:93], v[88:89] op_sel:[0,1] op_sel_hi:[1,0]
	v_pk_add_f32 v[4:5], v[4:5], v[22:23]
	v_mov_b32_e32 v88, v84
	v_mov_b32_e32 v89, v45
	v_pk_add_f32 v[4:5], v[4:5], v[18:19]
	v_pk_fma_f32 v[88:89], v[90:91], s[4:5], v[88:89] op_sel_hi:[1,0,1]
	ds_write2_b64 v192, v[4:5], v[88:89] offset1:24
	v_pk_add_f32 v[4:5], v[80:81], v[18:19]
	v_pk_add_f32 v[18:19], v[22:23], v[18:19] neg_lo:[0,1] neg_hi:[0,1]
	v_pk_fma_f32 v[4:5], v[4:5], 0.5, v[8:9] op_sel_hi:[1,0,1] neg_lo:[1,0,0] neg_hi:[1,0,0]
	v_pk_add_f32 v[8:9], v[46:47], v[80:81] neg_lo:[0,1] neg_hi:[0,1]
	v_pk_mul_f32 v[22:23], v[82:83], s[16:17] op_sel_hi:[1,0]
	v_pk_add_f32 v[8:9], v[8:9], v[18:19]
	v_pk_mul_f32 v[18:19], v[86:87], s[2:3] op_sel_hi:[1,0]
	v_mov_b32_e32 v45, v85
	v_pk_add_f32 v[46:47], v[4:5], v[18:19] op_sel:[0,1] op_sel_hi:[1,0] neg_lo:[0,1] neg_hi:[0,1]
	v_pk_add_f32 v[4:5], v[4:5], v[18:19] op_sel:[0,1] op_sel_hi:[1,0]
	v_pk_add_f32 v[18:19], v[46:47], v[22:23] op_sel:[0,1] op_sel_hi:[1,0]
	v_pk_add_f32 v[4:5], v[4:5], v[22:23] op_sel:[0,1] op_sel_hi:[1,0] neg_lo:[0,1] neg_hi:[0,1]
	v_mov_b32_e32 v22, v18
	v_mov_b32_e32 v23, v5
	;; [unrolled: 1-line block ×3, first 2 shown]
	v_pk_fma_f32 v[22:23], v[8:9], s[4:5], v[22:23] op_sel_hi:[1,0,1]
	v_pk_fma_f32 v[4:5], v[8:9], s[4:5], v[4:5] op_sel_hi:[1,0,1]
	ds_write2_b64 v192, v[22:23], v[4:5] offset0:48 offset1:72
	v_pk_fma_f32 v[4:5], v[90:91], s[4:5], v[44:45] op_sel_hi:[1,0,1]
	ds_write_b64 v192, v[4:5] offset:768
	v_pk_add_f32 v[4:5], v[76:77], v[24:25]
	v_pk_add_f32 v[8:9], v[78:79], v[20:21] neg_lo:[0,1] neg_hi:[0,1]
	v_pk_fma_f32 v[4:5], v[4:5], 0.5, v[10:11] op_sel_hi:[1,0,1] neg_lo:[1,0,0] neg_hi:[1,0,0]
	v_pk_mul_f32 v[18:19], v[8:9], s[2:3] op_sel_hi:[1,0]
	v_pk_add_f32 v[22:23], v[76:77], v[24:25] neg_lo:[0,1] neg_hi:[0,1]
	v_pk_add_f32 v[46:47], v[78:79], v[76:77] neg_lo:[0,1] neg_hi:[0,1]
	;; [unrolled: 1-line block ×3, first 2 shown]
	v_pk_mul_f32 v[44:45], v[22:23], s[16:17] op_sel_hi:[1,0]
	v_pk_add_f32 v[46:47], v[46:47], v[80:81]
	v_pk_add_f32 v[80:81], v[4:5], v[18:19] op_sel:[0,1] op_sel_hi:[1,0]
	v_pk_add_f32 v[4:5], v[4:5], v[18:19] op_sel:[0,1] op_sel_hi:[1,0] neg_lo:[0,1] neg_hi:[0,1]
	v_pk_add_f32 v[18:19], v[80:81], v[44:45] op_sel:[0,1] op_sel_hi:[1,0]
	v_pk_add_f32 v[4:5], v[4:5], v[44:45] op_sel:[0,1] op_sel_hi:[1,0] neg_lo:[0,1] neg_hi:[0,1]
	v_mov_b32_e32 v44, v18
	v_mov_b32_e32 v45, v5
	v_pk_fma_f32 v[44:45], v[46:47], s[4:5], v[44:45] op_sel_hi:[1,0,1]
	ds_write2_b64 v184, v[6:7], v[44:45] offset1:24
	v_pk_add_f32 v[6:7], v[78:79], v[20:21]
	v_pk_add_f32 v[20:21], v[24:25], v[20:21] neg_lo:[0,1] neg_hi:[0,1]
	v_pk_fma_f32 v[6:7], v[6:7], 0.5, v[10:11] op_sel_hi:[1,0,1] neg_lo:[1,0,0] neg_hi:[1,0,0]
	v_pk_add_f32 v[10:11], v[76:77], v[78:79] neg_lo:[0,1] neg_hi:[0,1]
	v_pk_mul_f32 v[8:9], v[8:9], s[16:17] op_sel_hi:[1,0]
	v_pk_add_f32 v[10:11], v[10:11], v[20:21]
	v_pk_mul_f32 v[20:21], v[22:23], s[2:3] op_sel_hi:[1,0]
	v_mov_b32_e32 v5, v19
	v_pk_add_f32 v[22:23], v[6:7], v[20:21] op_sel:[0,1] op_sel_hi:[1,0] neg_lo:[0,1] neg_hi:[0,1]
	v_pk_add_f32 v[6:7], v[6:7], v[20:21] op_sel:[0,1] op_sel_hi:[1,0]
	v_pk_fma_f32 v[4:5], v[46:47], s[4:5], v[4:5] op_sel_hi:[1,0,1]
	v_pk_add_f32 v[6:7], v[6:7], v[8:9] op_sel:[0,1] op_sel_hi:[1,0] neg_lo:[0,1] neg_hi:[0,1]
	v_pk_add_f32 v[8:9], v[22:23], v[8:9] op_sel:[0,1] op_sel_hi:[1,0]
	v_mov_b32_e32 v21, v7
	v_mov_b32_e32 v20, v8
	;; [unrolled: 1-line block ×3, first 2 shown]
	v_pk_fma_f32 v[20:21], v[10:11], s[4:5], v[20:21] op_sel_hi:[1,0,1]
	v_pk_fma_f32 v[6:7], v[10:11], s[4:5], v[6:7] op_sel_hi:[1,0,1]
	ds_write_b64 v184, v[4:5] offset:768
	v_pk_add_f32 v[4:5], v[16:17], v[72:73] op_sel:[1,0] op_sel_hi:[0,1]
	ds_write2_b64 v184, v[20:21], v[6:7] offset0:48 offset1:72
	ds_write2_b64 v179, v[66:67], v[4:5] offset1:24
	v_pk_add_f32 v[4:5], v[30:31], v[60:61]
	v_pk_add_f32 v[6:7], v[50:51], v[60:61] neg_lo:[0,1] neg_hi:[0,1]
	v_pk_fma_f32 v[2:3], v[4:5], 0.5, v[2:3] op_sel_hi:[1,0,1] neg_lo:[1,0,0] neg_hi:[1,0,0]
	v_pk_add_f32 v[4:5], v[48:49], v[30:31] neg_lo:[0,1] neg_hi:[0,1]
                                        ; implicit-def: $vgpr30
                                        ; implicit-def: $vgpr24
	s_nop 0
	v_pk_add_f32 v[4:5], v[4:5], v[6:7]
	v_pk_fma_f32 v[6:7], v[64:65], s[2:3], v[2:3] op_sel_hi:[1,0,1] neg_lo:[1,0,0] neg_hi:[1,0,0]
	v_pk_fma_f32 v[2:3], v[64:65], s[2:3], v[2:3] op_sel_hi:[1,0,1]
	v_pk_fma_f32 v[6:7], v[62:63], s[16:17], v[6:7] op_sel_hi:[1,0,1]
	v_pk_fma_f32 v[2:3], v[62:63], s[16:17], v[2:3] op_sel_hi:[1,0,1] neg_lo:[1,0,0] neg_hi:[1,0,0]
	v_mov_b32_e32 v8, v6
	v_mov_b32_e32 v9, v3
	v_mov_b32_e32 v3, v7
	v_pk_fma_f32 v[8:9], v[4:5], s[4:5], v[8:9] op_sel_hi:[1,0,1]
	v_pk_fma_f32 v[2:3], v[4:5], s[4:5], v[2:3] op_sel_hi:[1,0,1]
	ds_write2_b64 v179, v[8:9], v[2:3] offset0:48 offset1:72
	ds_write_b64 v179, v[68:69] offset:768
	v_add_u32_e32 v2, 0xc00, v110
	s_waitcnt lgkmcnt(0)
	; wave barrier
	s_waitcnt lgkmcnt(0)
	ds_read2_b64 v[72:75], v110 offset1:56
	ds_read2_b64 v[88:91], v94 offset0:112 offset1:168
	ds_read2_b64 v[76:79], v0 offset0:104 offset1:160
	;; [unrolled: 1-line block ×5, first 2 shown]
	v_add_u32_e32 v2, 0x1400, v110
	ds_read2_b64 v[80:83], v2 offset0:80 offset1:136
	v_cmp_lt_u16_e64 s[4:5], 7, v126
	v_cmp_gt_u16_e64 s[2:3], 8, v126
	s_and_saveexec_b64 s[16:17], s[2:3]
	s_cbranch_execz .LBB0_17
; %bb.16:
	ds_read2_b64 v[100:103], v0 offset0:96 offset1:216
	ds_read2_b64 v[104:107], v1 offset0:80 offset1:200
	ds_read_b64 v[24:25], v110 offset:6656
	ds_read2_b64 v[68:71], v110 offset0:112 offset1:232
	s_waitcnt lgkmcnt(3)
	v_mov_b32_e32 v30, v103
	s_waitcnt lgkmcnt(2)
	v_mov_b32_e32 v154, v107
	;; [unrolled: 2-line block ×3, first 2 shown]
	v_mov_b32_e32 v158, v105
	v_mov_b32_e32 v160, v101
.LBB0_17:
	s_or_b64 exec, exec, s[16:17]
	v_mad_u64_u32 v[0:1], s[16:17], v126, 48, s[0:1]
	global_load_dwordx4 v[60:63], v[0:1], off offset:960
	global_load_dwordx4 v[48:51], v[0:1], off offset:944
	;; [unrolled: 1-line block ×6, first 2 shown]
	v_add_u32_e32 v0, -8, v126
	v_cndmask_b32_e64 v0, v0, v148, s[2:3]
	v_mul_hi_i32_i24_e32 v1, 48, v0
	v_mul_i32_i24_e32 v0, 48, v0
	v_lshl_add_u64 v[8:9], s[0:1], 0, v[0:1]
	global_load_dwordx4 v[4:7], v[8:9], off offset:944
	global_load_dwordx4 v[0:3], v[8:9], off offset:960
	s_nop 0
	global_load_dwordx4 v[8:11], v[8:9], off offset:976
	s_mov_b32 s26, 0x3d64c772
	s_mov_b32 s22, 0x3f4a47b2
	;; [unrolled: 1-line block ×8, first 2 shown]
	s_waitcnt vmcnt(8) lgkmcnt(3)
	v_mul_f32_e32 v197, v93, v62
	s_waitcnt vmcnt(7)
	v_mul_f32_e32 v25, v89, v51
	s_waitcnt vmcnt(6) lgkmcnt(2)
	v_mul_f32_e32 v31, v85, v45
	s_waitcnt vmcnt(5)
	v_mul_f32_e32 v155, v95, v66
	v_mul_f32_e32 v157, v94, v67
	s_waitcnt vmcnt(3)
	v_mul_f32_e32 v101, v91, v23
	v_mul_f32_e32 v103, v87, v17
	v_fma_f32 v194, v84, v44, -v31
	v_fma_f32 v172, v88, v50, -v25
	s_waitcnt vmcnt(2) lgkmcnt(0)
	v_pk_mul_f32 v[148:149], v[70:71], v[4:5] op_sel:[1,0]
	v_pk_mul_f32 v[200:201], v[160:161], v[6:7] op_sel_hi:[0,1]
	s_waitcnt vmcnt(1)
	v_pk_mul_f32 v[30:31], v[30:31], v[0:1] op_sel_hi:[0,1]
	v_pk_mul_f32 v[202:203], v[158:159], v[2:3] op_sel_hi:[0,1]
	s_waitcnt vmcnt(0)
	v_pk_mul_f32 v[204:205], v[154:155], v[8:9] op_sel_hi:[0,1]
	v_pk_mul_f32 v[206:207], v[156:157], v[10:11] op_sel_hi:[0,1]
	v_fma_f32 v152, v90, v22, -v101
	v_fma_f32 v150, v86, v16, -v103
	v_pk_fma_f32 v[208:209], v[70:71], v[4:5], v[148:149] op_sel:[0,0,1] op_sel_hi:[1,1,0] neg_lo:[0,0,1] neg_hi:[0,0,1]
	v_pk_fma_f32 v[70:71], v[70:71], v[4:5], v[148:149] op_sel:[0,0,1] op_sel_hi:[0,1,0]
	v_pk_fma_f32 v[148:149], v[100:101], v[6:7], v[200:201] op_sel:[0,0,1] op_sel_hi:[1,1,0] neg_lo:[0,0,1] neg_hi:[0,0,1]
	v_pk_fma_f32 v[100:101], v[100:101], v[6:7], v[200:201] op_sel:[0,0,1] op_sel_hi:[0,1,0]
	;; [unrolled: 2-line block ×6, first 2 shown]
	v_mov_b32_e32 v209, v71
	v_mov_b32_e32 v149, v101
	;; [unrolled: 1-line block ×6, first 2 shown]
	v_pk_add_f32 v[24:25], v[208:209], v[204:205]
	v_pk_add_f32 v[70:71], v[148:149], v[202:203]
	v_pk_add_f32 v[100:101], v[148:149], v[202:203] neg_lo:[0,1] neg_hi:[0,1]
	v_pk_add_f32 v[104:105], v[200:201], v[102:103]
	v_pk_add_f32 v[102:103], v[102:103], v[200:201] neg_lo:[0,1] neg_hi:[0,1]
	;; [unrolled: 2-line block ×3, first 2 shown]
	v_pk_add_f32 v[148:149], v[70:71], v[24:25] neg_lo:[0,1] neg_hi:[0,1]
	v_pk_add_f32 v[200:201], v[102:103], v[100:101] op_sel:[1,1] op_sel_hi:[0,0]
	v_mov_b32_e32 v207, v105
	v_pk_add_f32 v[70:71], v[104:105], v[70:71] neg_lo:[0,1] neg_hi:[0,1]
	v_mov_b32_e32 v206, v106
	v_mov_b32_e32 v106, v104
	v_pk_add_f32 v[24:25], v[24:25], v[104:105] neg_lo:[0,1] neg_hi:[0,1]
	v_pk_add_f32 v[202:203], v[30:31], v[102:103] op_sel:[1,1] op_sel_hi:[0,0] neg_lo:[0,1] neg_hi:[0,1]
	v_pk_add_f32 v[204:205], v[100:101], v[30:31] op_sel:[1,1] op_sel_hi:[0,0] neg_lo:[0,1] neg_hi:[0,1]
	;; [unrolled: 1-line block ×3, first 2 shown]
	v_pk_add_f32 v[30:31], v[200:201], v[30:31] op_sel:[0,1] op_sel_hi:[1,0]
	v_pk_mul_f32 v[70:71], v[70:71], s[26:27] op_sel_hi:[1,0]
	v_pk_add_f32 v[200:201], v[206:207], v[106:107]
	v_pk_mul_f32 v[102:103], v[24:25], s[22:23] op_sel_hi:[1,0]
	v_pk_fma_f32 v[24:25], v[24:25], s[22:23], v[70:71] op_sel_hi:[1,0,1]
	v_pk_fma_f32 v[70:71], v[148:149], s[16:17], v[70:71] op_sel_hi:[1,0,1] neg_lo:[0,0,1] neg_hi:[0,0,1]
	v_pk_add_f32 v[106:107], v[68:69], v[200:201]
	v_pk_mul_f32 v[100:101], v[100:101], s[28:29] op_sel_hi:[1,0]
	v_pk_mul_f32 v[104:105], v[204:205], s[18:19] op_sel_hi:[1,0]
	;; [unrolled: 1-line block ×3, first 2 shown]
	v_pk_fma_f32 v[102:103], v[148:149], s[16:17], v[102:103] op_sel_hi:[1,0,1] neg_lo:[1,0,1] neg_hi:[1,0,1]
	v_mov_b32_e32 v68, v25
	v_mov_b32_e32 v69, v70
	v_pk_fma_f32 v[148:149], v[200:201], s[20:21], v[106:107] op_sel_hi:[1,0,1] neg_lo:[1,0,0] neg_hi:[1,0,0]
	v_pk_fma_f32 v[200:201], v[204:205], s[18:19], v[100:101] op_sel_hi:[1,0,1] neg_lo:[0,0,1] neg_hi:[0,0,1]
	v_pk_fma_f32 v[100:101], v[202:203], s[24:25], v[100:101] op_sel_hi:[1,0,1]
	v_mov_b32_e32 v205, v200
	v_mov_b32_e32 v204, v101
	v_pk_fma_f32 v[104:105], v[202:203], s[24:25], v[104:105] op_sel_hi:[1,0,1] neg_lo:[1,0,1] neg_hi:[1,0,1]
	v_pk_add_f32 v[102:103], v[102:103], v[148:149]
	v_pk_add_f32 v[68:69], v[68:69], v[148:149] op_sel:[0,1] op_sel_hi:[1,0]
	v_mov_b32_e32 v202, v206
	v_mov_b32_e32 v203, v149
	;; [unrolled: 1-line block ×5, first 2 shown]
	v_pk_add_f32 v[70:71], v[202:203], v[100:101]
	v_pk_add_f32 v[100:101], v[24:25], v[148:149]
	v_pk_add_f32 v[200:201], v[206:207], v[204:205] op_sel:[1,0] op_sel_hi:[0,1]
	v_pk_fma_f32 v[24:25], v[30:31], s[0:1], v[104:105] op_sel_hi:[1,0,1]
	v_mov_b32_e32 v31, v68
	v_mov_b32_e32 v104, v100
	;; [unrolled: 1-line block ×3, first 2 shown]
	v_pk_add_f32 v[148:149], v[30:31], v[104:105] neg_lo:[0,1] neg_hi:[0,1]
	v_pk_add_f32 v[204:205], v[102:103], v[24:25]
	v_pk_add_f32 v[30:31], v[102:103], v[24:25] neg_lo:[0,1] neg_hi:[0,1]
	v_mov_b32_e32 v102, v201
	v_mov_b32_e32 v104, v69
	v_pk_add_f32 v[202:203], v[100:101], v[70:71]
	v_pk_add_f32 v[104:105], v[102:103], v[104:105]
	v_pk_add_f32 v[102:103], v[70:71], v[100:101] neg_lo:[0,1] neg_hi:[0,1]
	v_pk_add_f32 v[100:101], v[100:101], v[70:71] neg_lo:[0,1] neg_hi:[0,1]
	v_pk_mul_f32 v[70:71], v[96:97], v[48:49] op_sel_hi:[1,0]
	v_mul_f32_e32 v199, v92, v63
	v_mov_b32_e32 v105, v103
	v_pk_add_f32 v[102:103], v[68:69], v[200:201]
	v_pk_add_f32 v[68:69], v[68:69], v[200:201] neg_lo:[0,1] neg_hi:[0,1]
	v_pk_fma_f32 v[200:201], v[96:97], v[48:49], v[70:71] op_sel:[0,1,1] op_sel_hi:[1,1,0]
	v_pk_fma_f32 v[70:71], v[96:97], v[48:49], v[70:71] op_sel:[0,1,1] op_sel_hi:[1,1,0] neg_lo:[1,0,0] neg_hi:[1,0,0]
	v_mov_b32_e32 v96, v89
	v_mov_b32_e32 v97, v92
	;; [unrolled: 1-line block ×9, first 2 shown]
	v_pk_mul_f32 v[88:89], v[88:89], v[92:93]
	v_mul_f32_e32 v173, v77, v60
	v_mul_f32_e32 v195, v76, v61
	v_pk_fma_f32 v[92:93], v[96:97], v[50:51], v[88:89]
	v_pk_fma_f32 v[88:89], v[96:97], v[202:203], v[88:89] neg_lo:[0,0,1] neg_hi:[0,0,1]
	v_mov_b32_e32 v96, v85
	v_mov_b32_e32 v97, v76
	;; [unrolled: 1-line block ×7, first 2 shown]
	v_pk_mul_f32 v[76:77], v[84:85], v[76:77]
	v_mov_b32_e32 v70, v47
	v_pk_fma_f32 v[84:85], v[96:97], v[44:45], v[76:77]
	v_pk_fma_f32 v[76:77], v[96:97], v[202:203], v[76:77] neg_lo:[0,0,1] neg_hi:[0,0,1]
	v_pk_mul_f32 v[96:97], v[80:81], v[46:47] op_sel_hi:[1,0]
	v_mov_b32_e32 v201, v71
	v_pk_fma_f32 v[202:203], v[80:81], v[70:71], v[96:97] op_sel:[0,0,1] op_sel_hi:[1,0,0]
	v_pk_fma_f32 v[80:81], v[80:81], v[70:71], v[96:97] op_sel:[0,0,1] op_sel_hi:[1,0,0] neg_lo:[1,0,0] neg_hi:[1,0,0]
	v_mov_b32_e32 v93, v89
	v_mov_b32_e32 v85, v77
	;; [unrolled: 1-line block ×6, first 2 shown]
	v_pk_add_f32 v[68:69], v[172:173], v[194:195]
	v_pk_add_f32 v[96:97], v[200:201], v[202:203]
	v_pk_add_f32 v[200:201], v[200:201], v[202:203] neg_lo:[0,1] neg_hi:[0,1]
	v_pk_add_f32 v[202:203], v[92:93], v[84:85]
	v_pk_add_f32 v[70:71], v[196:197], v[198:199]
	v_pk_add_f32 v[84:85], v[92:93], v[84:85] neg_lo:[0,1] neg_hi:[0,1]
	v_mov_b32_e32 v80, v71
	v_mov_b32_e32 v81, v172
	;; [unrolled: 1-line block ×8, first 2 shown]
	v_pk_add_f32 v[80:81], v[80:81], v[92:93] neg_lo:[0,1] neg_hi:[0,1]
	v_pk_add_f32 v[198:199], v[68:69], v[70:71]
	v_pk_add_f32 v[76:77], v[76:77], v[88:89]
	v_mov_b32_e32 v24, v204
	v_mov_b32_e32 v25, v31
	;; [unrolled: 1-line block ×12, first 2 shown]
	v_pk_add_f32 v[92:93], v[92:93], v[80:81] neg_lo:[0,1] neg_hi:[0,1]
	s_mov_b32 s25, s28
	v_pk_add_f32 v[194:195], v[194:195], v[84:85] neg_lo:[0,1] neg_hi:[0,1]
	s_mov_b32 s29, s24
	v_pk_add_f32 v[88:89], v[88:89], v[68:69] neg_lo:[0,1] neg_hi:[0,1]
	v_pk_add_f32 v[204:205], v[70:71], v[204:205] neg_lo:[0,1] neg_hi:[0,1]
	s_mov_b32 s27, s22
	s_mov_b32 s23, s26
	v_pk_mul_f32 v[172:173], v[92:93], s[24:25]
	v_pk_mul_f32 v[194:195], v[194:195], s[28:29]
	v_pk_add_f32 v[196:197], v[84:85], v[80:81]
	v_pk_add_f32 v[76:77], v[198:199], v[76:77]
	v_pk_mul_f32 v[88:89], v[88:89], s[26:27]
	v_pk_mul_f32 v[198:199], v[204:205], s[22:23]
	v_mov_b32_e32 v85, v81
	v_mov_b32_e32 v69, v202
	;; [unrolled: 1-line block ×3, first 2 shown]
	v_pk_add_f32 v[72:73], v[72:73], v[76:77]
	v_pk_fma_f32 v[204:205], v[204:205], s[22:23], v[88:89]
	v_pk_fma_f32 v[92:93], v[92:93], s[24:25], v[194:195]
	v_pk_add_f32 v[80:81], v[84:85], v[200:201] neg_lo:[0,1] neg_hi:[0,1]
	v_pk_add_f32 v[68:69], v[68:69], v[70:71] neg_lo:[0,1] neg_hi:[0,1]
	v_mov_b32_e32 v70, v198
	v_mov_b32_e32 v71, v89
	v_mov_b32_e32 v84, v172
	v_mov_b32_e32 v85, v195
	v_mov_b32_e32 v89, v199
	v_mov_b32_e32 v195, v173
	v_pk_add_f32 v[196:197], v[196:197], v[200:201]
	v_pk_fma_f32 v[76:77], v[76:77], s[20:21], v[72:73] op_sel_hi:[1,0,1] neg_lo:[1,0,0] neg_hi:[1,0,0]
	v_pk_fma_f32 v[70:71], v[68:69], s[16:17], v[70:71] op_sel_hi:[1,0,1] neg_lo:[1,0,1] neg_hi:[1,0,1]
	;; [unrolled: 1-line block ×5, first 2 shown]
	v_pk_add_f32 v[204:205], v[204:205], v[76:77]
	v_pk_add_f32 v[70:71], v[70:71], v[76:77]
	v_pk_fma_f32 v[84:85], v[196:197], s[0:1], v[84:85] op_sel_hi:[1,0,1]
	v_pk_add_f32 v[68:69], v[68:69], v[76:77]
	v_pk_fma_f32 v[76:77], v[196:197], s[0:1], v[80:81] op_sel_hi:[1,0,1]
	v_pk_add_f32 v[96:97], v[70:71], v[84:85]
	v_pk_add_f32 v[70:71], v[70:71], v[84:85] neg_lo:[0,1] neg_hi:[0,1]
	v_pk_add_f32 v[80:81], v[68:69], v[76:77] neg_lo:[0,1] neg_hi:[0,1]
	v_mov_b32_e32 v84, v96
	v_mov_b32_e32 v85, v71
	v_pk_add_f32 v[68:69], v[68:69], v[76:77]
	v_mov_b32_e32 v76, v80
	v_mov_b32_e32 v80, v91
	;; [unrolled: 1-line block ×5, first 2 shown]
	ds_write_b64 v110, v[84:85] offset:1920
	v_mov_b32_e32 v77, v69
	v_mov_b32_e32 v69, v81
	;; [unrolled: 1-line block ×6, first 2 shown]
	v_pk_mul_f32 v[88:89], v[90:91], v[88:89]
	v_mul_f32_e32 v153, v79, v64
	v_mul_f32_e32 v151, v78, v65
	ds_write_b64 v110, v[70:71] offset:4800
	v_pk_mul_f32 v[70:71], v[98:99], v[20:21] op_sel_hi:[1,0]
	v_pk_fma_f32 v[90:91], v[80:81], v[22:23], v[88:89]
	v_pk_fma_f32 v[80:81], v[80:81], v[84:85], v[88:89] neg_lo:[0,0,1] neg_hi:[0,0,1]
	v_mov_b32_e32 v84, v87
	v_mov_b32_e32 v85, v78
	;; [unrolled: 1-line block ×5, first 2 shown]
	ds_write_b64 v110, v[76:77] offset:2880
	v_pk_fma_f32 v[76:77], v[98:99], v[20:21], v[70:71] op_sel:[0,1,1] op_sel_hi:[1,1,0]
	v_pk_fma_f32 v[70:71], v[98:99], v[20:21], v[70:71] op_sel:[0,1,1] op_sel_hi:[1,1,0] neg_lo:[1,0,0] neg_hi:[1,0,0]
	v_mov_b32_e32 v88, v16
	v_mov_b32_e32 v89, v64
	v_pk_mul_f32 v[78:79], v[86:87], v[78:79]
	v_mov_b32_e32 v70, v19
	v_pk_fma_f32 v[86:87], v[84:85], v[16:17], v[78:79]
	v_pk_fma_f32 v[78:79], v[84:85], v[88:89], v[78:79] neg_lo:[0,0,1] neg_hi:[0,0,1]
	v_pk_mul_f32 v[84:85], v[82:83], v[18:19] op_sel_hi:[1,0]
	v_mov_b32_e32 v77, v71
	v_pk_fma_f32 v[88:89], v[82:83], v[70:71], v[84:85] op_sel:[0,0,1] op_sel_hi:[1,0,0]
	v_pk_fma_f32 v[82:83], v[82:83], v[70:71], v[84:85] op_sel:[0,0,1] op_sel_hi:[1,0,0] neg_lo:[1,0,0] neg_hi:[1,0,0]
	v_mov_b32_e32 v91, v81
	v_mov_b32_e32 v87, v79
	v_mov_b32_e32 v89, v83
	v_mov_b32_e32 v154, v71
	v_mov_b32_e32 v156, v83
	ds_write_b64 v110, v[68:69] offset:3840
	v_pk_add_f32 v[68:69], v[152:153], v[150:151]
	v_pk_add_f32 v[84:85], v[76:77], v[88:89]
	v_pk_add_f32 v[76:77], v[76:77], v[88:89] neg_lo:[0,1] neg_hi:[0,1]
	v_pk_add_f32 v[88:89], v[90:91], v[86:87]
	v_pk_add_f32 v[70:71], v[154:155], v[156:157]
	v_pk_add_f32 v[86:87], v[90:91], v[86:87] neg_lo:[0,1] neg_hi:[0,1]
	v_mov_b32_e32 v82, v71
	v_mov_b32_e32 v83, v152
	;; [unrolled: 1-line block ×8, first 2 shown]
	v_pk_add_f32 v[82:83], v[82:83], v[90:91] neg_lo:[0,1] neg_hi:[0,1]
	v_pk_add_f32 v[98:99], v[68:69], v[70:71]
	v_pk_add_f32 v[78:79], v[78:79], v[80:81]
	v_pk_fma_f32 v[92:93], v[196:197], s[0:1], v[92:93] op_sel_hi:[1,0,1]
	v_mov_b32_e32 v94, v82
	v_mov_b32_e32 v95, v77
	;; [unrolled: 1-line block ×4, first 2 shown]
	v_pk_add_f32 v[206:207], v[204:205], v[92:93]
	v_pk_add_f32 v[92:93], v[204:205], v[92:93] neg_lo:[0,1] neg_hi:[0,1]
	v_mov_b32_e32 v90, v76
	v_mov_b32_e32 v91, v87
	v_pk_add_f32 v[94:95], v[94:95], v[86:87] neg_lo:[0,1] neg_hi:[0,1]
	v_pk_add_f32 v[80:81], v[80:81], v[68:69] neg_lo:[0,1] neg_hi:[0,1]
	v_mov_b32_e32 v71, v99
	v_mov_b32_e32 v150, v78
	;; [unrolled: 1-line block ×3, first 2 shown]
	v_pk_add_f32 v[78:79], v[98:99], v[78:79]
	v_mov_b32_e32 v205, v93
	v_mov_b32_e32 v93, v207
	v_pk_add_f32 v[90:91], v[90:91], v[82:83] neg_lo:[0,1] neg_hi:[0,1]
	v_pk_mul_f32 v[94:95], v[94:95], s[28:29]
	v_pk_add_f32 v[96:97], v[86:87], v[82:83]
	v_pk_add_f32 v[150:151], v[70:71], v[150:151] neg_lo:[0,1] neg_hi:[0,1]
	v_pk_add_f32 v[74:75], v[74:75], v[78:79]
	v_pk_mul_f32 v[80:81], v[80:81], s[26:27]
	ds_write_b64 v110, v[92:93] offset:5760
	v_pk_mul_f32 v[92:93], v[90:91], s[24:25]
	v_pk_add_f32 v[96:97], v[96:97], v[76:77]
	v_pk_mul_f32 v[98:99], v[150:151], s[22:23]
	v_pk_fma_f32 v[78:79], v[78:79], s[20:21], v[74:75] op_sel_hi:[1,0,1] neg_lo:[1,0,0] neg_hi:[1,0,0]
	v_pk_fma_f32 v[150:151], v[150:151], s[22:23], v[80:81]
	v_pk_fma_f32 v[90:91], v[90:91], s[24:25], v[94:95]
	v_pk_add_f32 v[150:151], v[150:151], v[78:79]
	v_pk_fma_f32 v[90:91], v[96:97], s[0:1], v[90:91] op_sel_hi:[1,0,1]
	v_mov_b32_e32 v204, v206
	v_pk_add_f32 v[152:153], v[150:151], v[90:91]
	v_pk_add_f32 v[90:91], v[150:151], v[90:91] neg_lo:[0,1] neg_hi:[0,1]
	ds_write_b64 v110, v[204:205] offset:960
	ds_write2_b64 v110, v[72:73], v[74:75] offset1:56
	v_mov_b32_e32 v72, v152
	v_mov_b32_e32 v73, v91
	;; [unrolled: 1-line block ×5, first 2 shown]
	ds_write_b64 v110, v[72:73] offset:1408
	v_pk_add_f32 v[72:73], v[86:87], v[76:77] neg_lo:[0,1] neg_hi:[0,1]
	v_pk_add_f32 v[68:69], v[68:69], v[70:71] neg_lo:[0,1] neg_hi:[0,1]
	v_mov_b32_e32 v70, v98
	v_mov_b32_e32 v71, v81
	;; [unrolled: 1-line block ×4, first 2 shown]
	v_pk_fma_f32 v[70:71], v[68:69], s[16:17], v[70:71] op_sel_hi:[1,0,1] neg_lo:[1,0,1] neg_hi:[1,0,1]
	v_pk_fma_f32 v[74:75], v[72:73], s[18:19], v[74:75] op_sel_hi:[1,0,1] neg_lo:[1,0,1] neg_hi:[1,0,1]
	v_pk_add_f32 v[70:71], v[70:71], v[78:79]
	v_pk_fma_f32 v[74:75], v[96:97], s[0:1], v[74:75] op_sel_hi:[1,0,1]
	v_mov_b32_e32 v81, v99
	v_mov_b32_e32 v95, v93
	v_pk_add_f32 v[76:77], v[70:71], v[74:75]
	v_pk_add_f32 v[70:71], v[70:71], v[74:75] neg_lo:[0,1] neg_hi:[0,1]
	v_pk_fma_f32 v[68:69], v[68:69], s[16:17], v[80:81] op_sel_hi:[1,0,1] neg_lo:[0,0,1] neg_hi:[0,0,1]
	v_pk_fma_f32 v[72:73], v[72:73], s[18:19], v[94:95] op_sel_hi:[1,0,1] neg_lo:[0,0,1] neg_hi:[0,0,1]
	v_mov_b32_e32 v74, v76
	v_mov_b32_e32 v75, v71
	v_pk_add_f32 v[68:69], v[68:69], v[78:79]
	v_pk_fma_f32 v[72:73], v[96:97], s[0:1], v[72:73] op_sel_hi:[1,0,1]
	ds_write_b64 v110, v[74:75] offset:2368
	v_pk_add_f32 v[74:75], v[68:69], v[72:73] neg_lo:[0,1] neg_hi:[0,1]
	v_pk_add_f32 v[68:69], v[68:69], v[72:73]
	v_mov_b32_e32 v72, v74
	v_mov_b32_e32 v73, v69
	;; [unrolled: 1-line block ×5, first 2 shown]
	ds_write_b64 v110, v[72:73] offset:3328
	ds_write_b64 v110, v[68:69] offset:4288
	;; [unrolled: 1-line block ×4, first 2 shown]
	s_and_saveexec_b64 s[0:1], s[2:3]
	s_cbranch_execz .LBB0_19
; %bb.18:
	v_mov_b32_e32 v68, v103
	v_mov_b32_e32 v69, v101
	v_add_u32_e32 v70, 0x800, v110
	ds_write2_b64 v110, v[106:107], v[148:149] offset0:112 offset1:232
	ds_write2_b64 v70, v[24:25], v[68:69] offset0:96 offset1:216
	v_add_u32_e32 v68, 0x1000, v110
	ds_write2_b64 v68, v[104:105], v[30:31] offset0:80 offset1:200
	v_mov_b32_e32 v68, v100
	v_mov_b32_e32 v69, v102
	ds_write_b64 v110, v[68:69] offset:6656
.LBB0_19:
	s_or_b64 exec, exec, s[0:1]
	v_lshlrev_b32_e32 v68, 3, v126
	v_mov_b32_e32 v69, 0
	v_lshl_add_u64 v[70:71], s[14:15], 0, v[68:69]
	s_mov_b64 s[0:1], 0x1a40
	v_add_co_u32_e32 v72, vcc, 0x1000, v70
	v_lshl_add_u64 v[68:69], v[70:71], 0, s[0:1]
	s_nop 0
	v_addc_co_u32_e32 v73, vcc, 0, v71, vcc
	s_waitcnt lgkmcnt(0)
	; wave barrier
	s_waitcnt lgkmcnt(0)
	global_load_dwordx2 v[74:75], v[68:69], off offset:448
	global_load_dwordx2 v[82:83], v[72:73], off offset:2624
	s_movk_i32 s0, 0x2000
	v_add_co_u32_e32 v72, vcc, s0, v70
	global_load_dwordx2 v[98:99], v[68:69], off offset:3360
	global_load_dwordx2 v[154:155], v[68:69], off offset:3808
	;; [unrolled: 1-line block ×3, first 2 shown]
	v_addc_co_u32_e32 v73, vcc, 0, v71, vcc
	s_movk_i32 s0, 0x3000
	v_add_co_u32_e32 v70, vcc, s0, v70
	global_load_dwordx2 v[172:173], v[72:73], off offset:2784
	global_load_dwordx2 v[194:195], v[68:69], off offset:1344
	;; [unrolled: 1-line block ×6, first 2 shown]
	v_addc_co_u32_e32 v71, vcc, 0, v71, vcc
	global_load_dwordx2 v[204:205], v[70:71], off offset:32
	global_load_dwordx2 v[206:207], v[68:69], off offset:2688
	;; [unrolled: 1-line block ×3, first 2 shown]
	ds_read2_b64 v[78:81], v110 offset1:56
	v_add_u32_e32 v72, 0x800, v110
	v_add_u32_e32 v76, 0xc00, v110
	;; [unrolled: 1-line block ×4, first 2 shown]
	s_waitcnt vmcnt(13) lgkmcnt(0)
	v_mul_f32_e32 v73, v81, v75
	v_mul_f32_e32 v211, v80, v75
	s_waitcnt vmcnt(12)
	v_mul_f32_e32 v77, v79, v83
	v_mul_f32_e32 v75, v78, v83
	v_fma_f32 v210, v80, v74, -v73
	v_fmac_f32_e32 v211, v81, v74
	v_fma_f32 v74, v78, v82, -v77
	v_fmac_f32_e32 v75, v79, v82
	ds_write_b64 v110, v[74:75]
	ds_read2_b64 v[78:81], v72 offset0:80 offset1:164
	ds_read2_b64 v[82:85], v76 offset0:92 offset1:148
	ds_read2_b64 v[86:89], v110 offset0:112 offset1:168
	ds_read2_b64 v[90:93], v70 offset0:76 offset1:132
	ds_read2_b64 v[94:97], v71 offset0:96 offset1:152
	ds_read2_b64 v[150:153], v70 offset0:188 offset1:244
	s_waitcnt vmcnt(11) lgkmcnt(5)
	v_mul_f32_e32 v73, v81, v99
	v_mul_f32_e32 v75, v80, v99
	s_waitcnt vmcnt(10) lgkmcnt(4)
	v_mul_f32_e32 v77, v83, v155
	v_mul_f32_e32 v99, v82, v155
	;; [unrolled: 3-line block ×3, first 2 shown]
	s_waitcnt vmcnt(8)
	v_mul_f32_e32 v160, v85, v173
	v_mul_f32_e32 v157, v84, v173
	s_waitcnt vmcnt(7)
	v_mul_f32_e32 v177, v89, v195
	v_mul_f32_e32 v173, v88, v195
	s_waitcnt vmcnt(6) lgkmcnt(2)
	v_mul_f32_e32 v193, v91, v197
	v_mul_f32_e32 v195, v90, v197
	s_waitcnt vmcnt(5) lgkmcnt(1)
	v_mul_f32_e32 v212, v95, v199
	v_mul_f32_e32 v197, v94, v199
	v_fma_f32 v74, v80, v98, -v73
	v_fmac_f32_e32 v75, v81, v98
	v_fma_f32 v98, v82, v154, -v77
	v_fmac_f32_e32 v99, v83, v154
	s_waitcnt vmcnt(4)
	v_mul_f32_e32 v213, v93, v201
	v_mul_f32_e32 v199, v92, v201
	v_fma_f32 v154, v86, v156, -v158
	v_fmac_f32_e32 v155, v87, v156
	v_fma_f32 v156, v84, v172, -v160
	v_fmac_f32_e32 v157, v85, v172
	;; [unrolled: 2-line block ×5, first 2 shown]
	ds_write2_b64 v72, v[74:75], v[98:99] offset0:164 offset1:220
	ds_write2_b64 v110, v[210:211], v[154:155] offset0:56 offset1:112
	;; [unrolled: 1-line block ×4, first 2 shown]
	s_waitcnt vmcnt(2) lgkmcnt(4)
	v_mul_f32_e32 v73, v151, v205
	v_mul_f32_e32 v75, v150, v205
	v_fma_f32 v198, v92, v200, -v213
	v_fmac_f32_e32 v199, v93, v200
	v_fma_f32 v74, v150, v204, -v73
	v_fmac_f32_e32 v75, v151, v204
	v_mul_f32_e32 v201, v97, v203
	v_mul_f32_e32 v81, v96, v203
	ds_write2_b64 v70, v[198:199], v[74:75] offset0:132 offset1:188
	s_waitcnt vmcnt(1)
	v_mul_f32_e32 v73, v79, v207
	v_mul_f32_e32 v75, v78, v207
	v_fma_f32 v80, v96, v202, -v201
	v_fmac_f32_e32 v81, v97, v202
	v_fma_f32 v74, v78, v206, -v73
	v_fmac_f32_e32 v75, v79, v206
	ds_write2_b64 v72, v[80:81], v[74:75] offset0:24 offset1:80
	s_waitcnt vmcnt(0)
	v_mul_f32_e32 v73, v153, v209
	v_mul_f32_e32 v75, v152, v209
	v_fma_f32 v74, v152, v208, -v73
	v_fmac_f32_e32 v75, v153, v208
	ds_write_b64 v110, v[74:75] offset:6048
	s_and_saveexec_b64 s[0:1], s[6:7]
	s_cbranch_execz .LBB0_21
; %bb.20:
	global_load_dwordx2 v[74:75], v[68:69], off offset:3136
	v_add_co_u32_e32 v68, vcc, 0x1000, v68
	s_nop 1
	v_addc_co_u32_e32 v69, vcc, 0, v69, vcc
	global_load_dwordx2 v[68:69], v[68:69], off offset:2400
	ds_read_b64 v[78:79], v110 offset:3136
	ds_read_b64 v[80:81], v110 offset:6496
	s_waitcnt vmcnt(1) lgkmcnt(1)
	v_mul_f32_e32 v73, v79, v75
	v_mul_f32_e32 v83, v78, v75
	v_fma_f32 v82, v78, v74, -v73
	v_fmac_f32_e32 v83, v79, v74
	ds_write_b64 v110, v[82:83] offset:3136
	s_waitcnt vmcnt(0) lgkmcnt(1)
	v_mul_f32_e32 v73, v81, v69
	v_mul_f32_e32 v75, v80, v69
	v_fma_f32 v74, v80, v68, -v73
	v_fmac_f32_e32 v75, v81, v68
	ds_write_b64 v110, v[74:75] offset:6496
.LBB0_21:
	s_or_b64 exec, exec, s[0:1]
	s_waitcnt lgkmcnt(0)
	; wave barrier
	s_waitcnt lgkmcnt(0)
	ds_read2_b64 v[84:87], v110 offset1:56
	ds_read2_b64 v[72:75], v72 offset0:80 offset1:164
	ds_read2_b64 v[92:95], v76 offset0:92 offset1:148
	;; [unrolled: 1-line block ×6, first 2 shown]
	v_lshlrev_b32_e32 v97, 3, v166
	v_lshlrev_b32_e32 v96, 3, v167
	s_and_saveexec_b64 s[0:1], s[6:7]
	s_cbranch_execz .LBB0_23
; %bb.22:
	ds_read_b64 v[106:107], v110 offset:3136
	ds_read_b64 v[148:149], v110 offset:6496
.LBB0_23:
	s_or_b64 exec, exec, s[0:1]
	s_waitcnt lgkmcnt(5)
	v_pk_add_f32 v[150:151], v[84:85], v[74:75] neg_lo:[0,1] neg_hi:[0,1]
	s_waitcnt lgkmcnt(4)
	v_pk_add_f32 v[92:93], v[86:87], v[92:93] neg_lo:[0,1] neg_hi:[0,1]
	;; [unrolled: 2-line block ×6, first 2 shown]
	v_pk_add_f32 v[70:71], v[106:107], v[148:149] neg_lo:[0,1] neg_hi:[0,1]
	v_pk_fma_f32 v[148:149], v[84:85], 2.0, v[150:151] op_sel_hi:[1,0,1] neg_lo:[0,0,1] neg_hi:[0,0,1]
	v_pk_fma_f32 v[90:91], v[86:87], 2.0, v[92:93] op_sel_hi:[1,0,1] neg_lo:[0,0,1] neg_hi:[0,0,1]
	v_pk_add_f32 v[154:155], v[78:79], v[68:69] neg_lo:[0,1] neg_hi:[0,1]
	s_waitcnt lgkmcnt(0)
	; wave barrier
	ds_write_b128 v159, v[148:151]
	ds_write_b128 v161, v[90:93]
	v_pk_fma_f32 v[92:93], v[80:81], 2.0, v[94:95] op_sel_hi:[1,0,1] neg_lo:[0,0,1] neg_hi:[0,0,1]
	v_pk_fma_f32 v[86:87], v[82:83], 2.0, v[88:89] op_sel_hi:[1,0,1] neg_lo:[0,0,1] neg_hi:[0,0,1]
	;; [unrolled: 1-line block ×4, first 2 shown]
	ds_write_b128 v162, v[92:95]
	ds_write_b128 v164, v[86:89]
	;; [unrolled: 1-line block ×3, first 2 shown]
	v_pk_fma_f32 v[152:153], v[78:79], 2.0, v[154:155] op_sel_hi:[1,0,1] neg_lo:[0,0,1] neg_hi:[0,0,1]
	v_pk_fma_f32 v[72:73], v[72:73], 2.0, v[74:75] op_sel_hi:[1,0,1] neg_lo:[0,0,1] neg_hi:[0,0,1]
	ds_write_b128 v97, v[152:155]
	ds_write_b128 v96, v[72:75]
	s_and_saveexec_b64 s[0:1], s[6:7]
	s_cbranch_execz .LBB0_25
; %bb.24:
	ds_write_b128 v163, v[68:71]
.LBB0_25:
	s_or_b64 exec, exec, s[0:1]
	v_add_u32_e32 v72, 0x800, v110
	v_add_u32_e32 v76, 0xc00, v110
	s_waitcnt lgkmcnt(0)
	; wave barrier
	s_waitcnt lgkmcnt(0)
	ds_read2_b64 v[92:95], v110 offset1:56
	ds_read2_b64 v[72:75], v72 offset0:80 offset1:164
	ds_read2_b64 v[96:99], v76 offset0:92 offset1:148
	;; [unrolled: 1-line block ×3, first 2 shown]
	v_add_u32_e32 v76, 0x1000, v110
	v_add_u32_e32 v77, 0x400, v110
	ds_read2_b64 v[84:87], v76 offset0:76 offset1:132
	ds_read2_b64 v[80:83], v77 offset0:96 offset1:152
	;; [unrolled: 1-line block ×3, first 2 shown]
	v_mov_b32_e32 v106, v144
	v_mov_b32_e32 v107, v144
	;; [unrolled: 1-line block ×4, first 2 shown]
	s_and_saveexec_b64 s[0:1], s[6:7]
	s_cbranch_execz .LBB0_27
; %bb.26:
	ds_read_b64 v[68:69], v110 offset:3136
	ds_read_b64 v[70:71], v110 offset:6496
.LBB0_27:
	s_or_b64 exec, exec, s[0:1]
	s_waitcnt lgkmcnt(0)
	v_pk_mul_f32 v[150:151], v[144:145], v[70:71] op_sel:[0,1]
	s_nop 0
	v_pk_fma_f32 v[152:153], v[144:145], v[70:71], v[150:151] op_sel:[0,0,1] op_sel_hi:[1,1,0]
	v_pk_fma_f32 v[70:71], v[144:145], v[70:71], v[150:151] op_sel:[0,0,1] op_sel_hi:[1,0,0] neg_lo:[1,0,0] neg_hi:[1,0,0]
	; wave barrier
	s_nop 0
	v_mov_b32_e32 v153, v71
	v_pk_add_f32 v[172:173], v[68:69], v[152:153] neg_lo:[0,1] neg_hi:[0,1]
	s_nop 0
	v_pk_fma_f32 v[166:167], v[68:69], 2.0, v[172:173] op_sel_hi:[1,0,1] neg_lo:[0,0,1] neg_hi:[0,0,1]
	v_pk_mul_f32 v[68:69], v[148:149], v[74:75]
	s_nop 0
	v_pk_fma_f32 v[70:71], v[106:107], v[74:75], v[68:69] op_sel:[0,0,1] op_sel_hi:[1,1,0]
	v_pk_fma_f32 v[68:69], v[106:107], v[74:75], v[68:69] op_sel:[0,0,1] op_sel_hi:[1,1,0] neg_lo:[0,0,1] neg_hi:[0,0,1]
	s_nop 0
	v_mov_b32_e32 v71, v69
	v_pk_add_f32 v[68:69], v[92:93], v[70:71] neg_lo:[0,1] neg_hi:[0,1]
	s_nop 0
	v_pk_fma_f32 v[70:71], v[92:93], 2.0, v[68:69] op_sel_hi:[1,0,1] neg_lo:[0,0,1] neg_hi:[0,0,1]
	ds_write2_b64 v176, v[70:71], v[68:69] offset1:2
	v_pk_mul_f32 v[68:69], v[148:149], v[96:97]
	s_nop 0
	v_pk_fma_f32 v[70:71], v[106:107], v[96:97], v[68:69] op_sel:[0,0,1] op_sel_hi:[1,1,0]
	v_pk_fma_f32 v[68:69], v[106:107], v[96:97], v[68:69] op_sel:[0,0,1] op_sel_hi:[1,1,0] neg_lo:[0,0,1] neg_hi:[0,0,1]
	s_nop 0
	v_mov_b32_e32 v71, v69
	v_pk_add_f32 v[68:69], v[94:95], v[70:71] neg_lo:[0,1] neg_hi:[0,1]
	s_nop 0
	v_pk_fma_f32 v[70:71], v[94:95], 2.0, v[68:69] op_sel_hi:[1,0,1] neg_lo:[0,0,1] neg_hi:[0,0,1]
	ds_write2_b64 v175, v[70:71], v[68:69] offset1:2
	;; [unrolled: 10-line block ×7, first 2 shown]
	s_and_saveexec_b64 s[0:1], s[6:7]
	s_cbranch_execz .LBB0_29
; %bb.28:
	s_movk_i32 s14, 0x37c
	v_and_or_b32 v68, v111, s14, v127
	v_lshlrev_b32_e32 v68, 3, v68
	ds_write2_b64 v68, v[166:167], v[172:173] offset1:2
.LBB0_29:
	s_or_b64 exec, exec, s[0:1]
	v_add_u32_e32 v68, 0x800, v110
	v_add_u32_e32 v72, 0xc00, v110
	s_waitcnt lgkmcnt(0)
	; wave barrier
	s_waitcnt lgkmcnt(0)
	ds_read2_b64 v[88:91], v110 offset1:56
	ds_read2_b64 v[68:71], v68 offset0:80 offset1:164
	ds_read2_b64 v[92:95], v72 offset0:92 offset1:148
	;; [unrolled: 1-line block ×3, first 2 shown]
	v_add_u32_e32 v72, 0x1000, v110
	v_add_u32_e32 v73, 0x400, v110
	ds_read2_b64 v[80:83], v72 offset0:76 offset1:132
	ds_read2_b64 v[76:79], v73 offset0:96 offset1:152
	;; [unrolled: 1-line block ×3, first 2 shown]
	v_mov_b32_e32 v174, v146
	v_mov_b32_e32 v175, v146
	;; [unrolled: 1-line block ×4, first 2 shown]
	s_and_saveexec_b64 s[0:1], s[6:7]
	s_cbranch_execz .LBB0_31
; %bb.30:
	ds_read_b64 v[166:167], v110 offset:3136
	ds_read_b64 v[172:173], v110 offset:6496
.LBB0_31:
	s_or_b64 exec, exec, s[0:1]
	s_waitcnt lgkmcnt(0)
	v_pk_mul_f32 v[96:97], v[146:147], v[172:173] op_sel:[0,1]
	s_nop 0
	v_pk_fma_f32 v[194:195], v[146:147], v[172:173], v[96:97] op_sel:[0,0,1] op_sel_hi:[1,1,0]
	v_pk_fma_f32 v[96:97], v[146:147], v[172:173], v[96:97] op_sel:[0,0,1] op_sel_hi:[1,0,0] neg_lo:[1,0,0] neg_hi:[1,0,0]
	v_pk_mul_f32 v[146:147], v[176:177], v[70:71]
	; wave barrier
	s_nop 0
	v_pk_fma_f32 v[172:173], v[174:175], v[70:71], v[146:147] op_sel:[0,0,1] op_sel_hi:[1,1,0]
	v_pk_fma_f32 v[70:71], v[174:175], v[70:71], v[146:147] op_sel:[0,0,1] op_sel_hi:[1,1,0] neg_lo:[0,0,1] neg_hi:[0,0,1]
	v_mov_b32_e32 v195, v97
	v_mov_b32_e32 v173, v71
	v_pk_add_f32 v[70:71], v[88:89], v[172:173] neg_lo:[0,1] neg_hi:[0,1]
	v_mov_b32_e32 v170, v12
	v_pk_fma_f32 v[88:89], v[88:89], 2.0, v[70:71] op_sel_hi:[1,0,1] neg_lo:[0,0,1] neg_hi:[0,0,1]
	ds_write2_b64 v191, v[88:89], v[70:71] offset1:4
	v_pk_mul_f32 v[70:71], v[176:177], v[92:93]
	v_mov_b32_e32 v171, v12
	v_pk_fma_f32 v[88:89], v[174:175], v[92:93], v[70:71] op_sel:[0,0,1] op_sel_hi:[1,1,0]
	v_pk_fma_f32 v[70:71], v[174:175], v[92:93], v[70:71] op_sel:[0,0,1] op_sel_hi:[1,1,0] neg_lo:[0,0,1] neg_hi:[0,0,1]
	v_mov_b32_e32 v12, v13
	v_mov_b32_e32 v89, v71
	v_pk_add_f32 v[70:71], v[90:91], v[88:89] neg_lo:[0,1] neg_hi:[0,1]
	v_mov_b32_e32 v168, v14
	v_pk_fma_f32 v[88:89], v[90:91], 2.0, v[70:71] op_sel_hi:[1,0,1] neg_lo:[0,0,1] neg_hi:[0,0,1]
	ds_write2_b64 v189, v[88:89], v[70:71] offset1:4
	v_pk_mul_f32 v[70:71], v[176:177], v[94:95]
	v_mov_b32_e32 v169, v14
	v_pk_fma_f32 v[88:89], v[174:175], v[94:95], v[70:71] op_sel:[0,0,1] op_sel_hi:[1,1,0]
	v_pk_fma_f32 v[70:71], v[174:175], v[94:95], v[70:71] op_sel:[0,0,1] op_sel_hi:[1,1,0] neg_lo:[0,0,1] neg_hi:[0,0,1]
	v_mov_b32_e32 v14, v15
	v_mov_b32_e32 v89, v71
	v_pk_add_f32 v[70:71], v[84:85], v[88:89] neg_lo:[0,1] neg_hi:[0,1]
	v_mov_b32_e32 v164, v56
	v_pk_fma_f32 v[84:85], v[84:85], 2.0, v[70:71] op_sel_hi:[1,0,1] neg_lo:[0,0,1] neg_hi:[0,0,1]
	ds_write2_b64 v187, v[84:85], v[70:71] offset1:4
	v_pk_mul_f32 v[70:71], v[176:177], v[80:81]
	v_mov_b32_e32 v165, v56
	v_pk_fma_f32 v[84:85], v[174:175], v[80:81], v[70:71] op_sel:[0,0,1] op_sel_hi:[1,1,0]
	v_pk_fma_f32 v[70:71], v[174:175], v[80:81], v[70:71] op_sel:[0,0,1] op_sel_hi:[1,1,0] neg_lo:[0,0,1] neg_hi:[0,0,1]
	v_mov_b32_e32 v56, v57
	v_mov_b32_e32 v85, v71
	v_pk_add_f32 v[70:71], v[86:87], v[84:85] neg_lo:[0,1] neg_hi:[0,1]
	v_mov_b32_e32 v162, v58
	v_pk_fma_f32 v[80:81], v[86:87], 2.0, v[70:71] op_sel_hi:[1,0,1] neg_lo:[0,0,1] neg_hi:[0,0,1]
	ds_write2_b64 v186, v[80:81], v[70:71] offset1:4
	v_pk_mul_f32 v[70:71], v[176:177], v[82:83]
	v_mov_b32_e32 v163, v58
	v_pk_fma_f32 v[80:81], v[174:175], v[82:83], v[70:71] op_sel:[0,0,1] op_sel_hi:[1,1,0]
	v_pk_fma_f32 v[70:71], v[174:175], v[82:83], v[70:71] op_sel:[0,0,1] op_sel_hi:[1,1,0] neg_lo:[0,0,1] neg_hi:[0,0,1]
	v_mov_b32_e32 v58, v59
	v_mov_b32_e32 v81, v71
	v_pk_add_f32 v[70:71], v[76:77], v[80:81] neg_lo:[0,1] neg_hi:[0,1]
	v_mov_b32_e32 v160, v52
	v_pk_fma_f32 v[76:77], v[76:77], 2.0, v[70:71] op_sel_hi:[1,0,1] neg_lo:[0,0,1] neg_hi:[0,0,1]
	ds_write2_b64 v183, v[76:77], v[70:71] offset1:4
	v_pk_mul_f32 v[70:71], v[176:177], v[72:73]
	v_mov_b32_e32 v161, v52
	v_pk_fma_f32 v[76:77], v[174:175], v[72:73], v[70:71] op_sel:[0,0,1] op_sel_hi:[1,1,0]
	v_pk_fma_f32 v[70:71], v[174:175], v[72:73], v[70:71] op_sel:[0,0,1] op_sel_hi:[1,1,0] neg_lo:[0,0,1] neg_hi:[0,0,1]
	v_mov_b32_e32 v52, v53
	v_mov_b32_e32 v77, v71
	v_pk_add_f32 v[70:71], v[78:79], v[76:77] neg_lo:[0,1] neg_hi:[0,1]
	v_mov_b32_e32 v158, v54
	v_pk_fma_f32 v[72:73], v[78:79], 2.0, v[70:71] op_sel_hi:[1,0,1] neg_lo:[0,0,1] neg_hi:[0,0,1]
	ds_write2_b64 v181, v[72:73], v[70:71] offset1:4
	v_pk_mul_f32 v[70:71], v[176:177], v[74:75]
	v_mov_b32_e32 v159, v54
	v_pk_fma_f32 v[72:73], v[174:175], v[74:75], v[70:71] op_sel:[0,0,1] op_sel_hi:[1,1,0]
	v_pk_fma_f32 v[70:71], v[174:175], v[74:75], v[70:71] op_sel:[0,0,1] op_sel_hi:[1,1,0] neg_lo:[0,0,1] neg_hi:[0,0,1]
	v_mov_b32_e32 v54, v55
	v_mov_b32_e32 v73, v71
	v_pk_add_f32 v[70:71], v[68:69], v[72:73] neg_lo:[0,1] neg_hi:[0,1]
	v_mov_b32_e32 v156, v40
	v_mov_b32_e32 v157, v40
	;; [unrolled: 1-line block ×24, first 2 shown]
	v_pk_add_f32 v[96:97], v[166:167], v[194:195] neg_lo:[0,1] neg_hi:[0,1]
	v_pk_fma_f32 v[68:69], v[68:69], 2.0, v[70:71] op_sel_hi:[1,0,1] neg_lo:[0,0,1] neg_hi:[0,0,1]
	ds_write2_b64 v180, v[68:69], v[70:71] offset1:4
	s_and_saveexec_b64 s[0:1], s[6:7]
	s_cbranch_execz .LBB0_33
; %bb.32:
	s_movk_i32 s14, 0x378
	v_and_or_b32 v68, v111, s14, v135
	v_lshlrev_b32_e32 v70, 3, v68
	v_pk_fma_f32 v[68:69], v[166:167], 2.0, v[96:97] op_sel_hi:[1,0,1] neg_lo:[0,0,1] neg_hi:[0,0,1]
	ds_write2_b64 v70, v[68:69], v[96:97] offset1:4
.LBB0_33:
	s_or_b64 exec, exec, s[0:1]
	v_add_u32_e32 v111, 0x800, v110
	s_waitcnt lgkmcnt(0)
	; wave barrier
	s_waitcnt lgkmcnt(0)
	ds_read2_b64 v[68:71], v111 offset0:192 offset1:248
	v_add_u32_e32 v127, 0x400, v110
	ds_read2_b64 v[72:75], v127 offset0:96 offset1:152
	ds_read_b64 v[76:77], v110 offset:6272
	v_add_u32_e32 v135, 0x1000, v110
	ds_read2_b64 v[80:83], v135 offset0:160 offset1:216
	s_waitcnt lgkmcnt(3)
	v_pk_mul_f32 v[78:79], v[12:13], v[70:71]
	s_mov_b32 s0, 0x3f5db3d7
	v_pk_fma_f32 v[88:89], v[170:171], v[70:71], v[78:79] op_sel:[0,0,1] op_sel_hi:[1,1,0]
	v_pk_fma_f32 v[70:71], v[170:171], v[70:71], v[78:79] op_sel:[0,0,1] op_sel_hi:[1,1,0] neg_lo:[0,0,1] neg_hi:[0,0,1]
	s_waitcnt lgkmcnt(0)
	v_pk_mul_f32 v[84:85], v[14:15], v[82:83]
	v_mov_b32_e32 v89, v71
	v_pk_mul_f32 v[70:71], v[14:15], v[76:77]
	v_pk_fma_f32 v[146:147], v[168:169], v[82:83], v[84:85] op_sel:[0,0,1] op_sel_hi:[1,1,0]
	v_pk_fma_f32 v[90:91], v[168:169], v[76:77], v[70:71] op_sel:[0,0,1] op_sel_hi:[1,1,0]
	v_pk_fma_f32 v[70:71], v[168:169], v[76:77], v[70:71] op_sel:[0,0,1] op_sel_hi:[1,1,0] neg_lo:[0,0,1] neg_hi:[0,0,1]
	ds_read2_b64 v[76:79], v110 offset0:112 offset1:168
	v_mov_b32_e32 v91, v71
	v_pk_add_f32 v[70:71], v[72:73], v[88:89]
	v_pk_fma_f32 v[82:83], v[168:169], v[82:83], v[84:85] op_sel:[0,0,1] op_sel_hi:[1,1,0] neg_lo:[0,0,1] neg_hi:[0,0,1]
	v_pk_add_f32 v[92:93], v[70:71], v[90:91]
	v_pk_mul_f32 v[70:71], v[12:13], v[68:69]
	v_mov_b32_e32 v147, v83
	v_pk_fma_f32 v[94:95], v[170:171], v[68:69], v[70:71] op_sel:[0,0,1] op_sel_hi:[1,1,0]
	v_pk_fma_f32 v[68:69], v[170:171], v[68:69], v[70:71] op_sel:[0,0,1] op_sel_hi:[1,1,0] neg_lo:[0,0,1] neg_hi:[0,0,1]
	s_mov_b32 s16, 0x3f167918
	v_mov_b32_e32 v95, v69
	ds_read2_b64 v[68:71], v111 offset0:80 offset1:136
	s_waitcnt lgkmcnt(1)
	v_pk_add_f32 v[82:83], v[78:79], v[94:95]
	s_mov_b32 s14, 0x3e9e377a
	v_pk_add_f32 v[166:167], v[82:83], v[146:147]
	s_waitcnt lgkmcnt(0)
	v_pk_mul_f32 v[82:83], v[12:13], v[70:71]
	s_nop 0
	v_pk_fma_f32 v[172:173], v[170:171], v[70:71], v[82:83] op_sel:[0,0,1] op_sel_hi:[1,1,0]
	v_pk_fma_f32 v[70:71], v[170:171], v[70:71], v[82:83] op_sel:[0,0,1] op_sel_hi:[1,1,0] neg_lo:[0,0,1] neg_hi:[0,0,1]
	v_pk_mul_f32 v[176:177], v[12:13], v[68:69]
	v_mov_b32_e32 v173, v71
	v_pk_mul_f32 v[70:71], v[14:15], v[80:81]
	v_pk_fma_f32 v[180:181], v[170:171], v[68:69], v[176:177] op_sel:[0,0,1] op_sel_hi:[1,1,0]
	v_pk_fma_f32 v[174:175], v[168:169], v[80:81], v[70:71] op_sel:[0,0,1] op_sel_hi:[1,1,0]
	v_pk_fma_f32 v[70:71], v[168:169], v[80:81], v[70:71] op_sel:[0,0,1] op_sel_hi:[1,1,0] neg_lo:[0,0,1] neg_hi:[0,0,1]
	ds_read2_b64 v[80:83], v110 offset1:56
	ds_read2_b64 v[84:87], v135 offset0:48 offset1:104
	v_pk_fma_f32 v[68:69], v[170:171], v[68:69], v[176:177] op_sel:[0,0,1] op_sel_hi:[1,1,0] neg_lo:[0,0,1] neg_hi:[0,0,1]
	v_pk_mul_f32 v[12:13], v[12:13], v[74:75]
	v_mov_b32_e32 v181, v69
	s_waitcnt lgkmcnt(0)
	v_pk_mul_f32 v[68:69], v[14:15], v[86:87]
	; wave barrier
	s_nop 0
	v_pk_fma_f32 v[176:177], v[168:169], v[86:87], v[68:69] op_sel:[0,0,1] op_sel_hi:[1,1,0]
	v_pk_fma_f32 v[68:69], v[168:169], v[86:87], v[68:69] op_sel:[0,0,1] op_sel_hi:[1,1,0] neg_lo:[0,0,1] neg_hi:[0,0,1]
	v_pk_fma_f32 v[86:87], v[170:171], v[74:75], v[12:13] op_sel:[0,0,1] op_sel_hi:[1,1,0]
	v_pk_fma_f32 v[12:13], v[170:171], v[74:75], v[12:13] op_sel:[0,0,1] op_sel_hi:[1,1,0] neg_lo:[0,0,1] neg_hi:[0,0,1]
	v_mov_b32_e32 v177, v69
	v_mov_b32_e32 v87, v13
	v_pk_mul_f32 v[12:13], v[14:15], v[84:85]
	v_pk_add_f32 v[68:69], v[82:83], v[180:181]
	v_pk_fma_f32 v[14:15], v[168:169], v[84:85], v[12:13] op_sel:[0,0,1] op_sel_hi:[1,1,0]
	v_pk_fma_f32 v[12:13], v[168:169], v[84:85], v[12:13] op_sel:[0,0,1] op_sel_hi:[1,1,0] neg_lo:[0,0,1] neg_hi:[0,0,1]
	v_mov_b32_e32 v175, v71
	v_mov_b32_e32 v15, v13
	v_pk_add_f32 v[12:13], v[80:81], v[86:87]
	v_pk_add_f32 v[74:75], v[86:87], v[14:15]
	;; [unrolled: 1-line block ×3, first 2 shown]
	v_pk_add_f32 v[14:15], v[86:87], v[14:15] neg_lo:[0,1] neg_hi:[0,1]
	v_pk_fma_f32 v[74:75], v[74:75], 0.5, v[80:81] op_sel_hi:[1,0,1] neg_lo:[1,0,0] neg_hi:[1,0,0]
	v_pk_mul_f32 v[14:15], v[14:15], s[0:1] op_sel_hi:[1,0]
	v_pk_add_f32 v[68:69], v[68:69], v[176:177]
	v_pk_add_f32 v[80:81], v[74:75], v[14:15] op_sel:[0,1] op_sel_hi:[1,0] neg_lo:[0,1] neg_hi:[0,1]
	v_pk_add_f32 v[14:15], v[74:75], v[14:15] op_sel:[0,1] op_sel_hi:[1,0]
	v_mov_b32_e32 v74, v80
	v_mov_b32_e32 v75, v15
	v_mov_b32_e32 v15, v81
	ds_write2_b64 v190, v[12:13], v[74:75] offset1:8
	ds_write_b64 v190, v[14:15] offset:128
	v_pk_add_f32 v[12:13], v[180:181], v[176:177]
	v_pk_add_f32 v[14:15], v[180:181], v[176:177] neg_lo:[0,1] neg_hi:[0,1]
	v_pk_fma_f32 v[12:13], v[12:13], 0.5, v[82:83] op_sel_hi:[1,0,1] neg_lo:[1,0,0] neg_hi:[1,0,0]
	v_pk_mul_f32 v[14:15], v[14:15], s[0:1] op_sel_hi:[1,0]
	v_pk_add_f32 v[70:71], v[76:77], v[172:173]
	v_pk_add_f32 v[74:75], v[12:13], v[14:15] op_sel:[0,1] op_sel_hi:[1,0] neg_lo:[0,1] neg_hi:[0,1]
	v_pk_add_f32 v[12:13], v[12:13], v[14:15] op_sel:[0,1] op_sel_hi:[1,0]
	v_mov_b32_e32 v14, v74
	v_mov_b32_e32 v15, v13
	v_mov_b32_e32 v13, v75
	ds_write2_b64 v188, v[68:69], v[14:15] offset1:8
	ds_write_b64 v188, v[12:13] offset:128
	v_pk_add_f32 v[12:13], v[172:173], v[174:175]
	;; [unrolled: 12-line block ×3, first 2 shown]
	v_pk_add_f32 v[14:15], v[94:95], v[146:147] neg_lo:[0,1] neg_hi:[0,1]
	v_pk_fma_f32 v[12:13], v[12:13], 0.5, v[78:79] op_sel_hi:[1,0,1] neg_lo:[1,0,0] neg_hi:[1,0,0]
	v_pk_mul_f32 v[14:15], v[14:15], s[0:1] op_sel_hi:[1,0]
	s_nop 0
	v_pk_add_f32 v[68:69], v[12:13], v[14:15] op_sel:[0,1] op_sel_hi:[1,0] neg_lo:[0,1] neg_hi:[0,1]
	v_pk_add_f32 v[12:13], v[12:13], v[14:15] op_sel:[0,1] op_sel_hi:[1,0]
	v_mov_b32_e32 v14, v68
	v_mov_b32_e32 v15, v13
	;; [unrolled: 1-line block ×3, first 2 shown]
	ds_write2_b64 v182, v[166:167], v[14:15] offset1:8
	ds_write_b64 v182, v[12:13] offset:128
	v_pk_add_f32 v[12:13], v[88:89], v[90:91]
	v_pk_add_f32 v[14:15], v[88:89], v[90:91] neg_lo:[0,1] neg_hi:[0,1]
	v_pk_fma_f32 v[12:13], v[12:13], 0.5, v[72:73] op_sel_hi:[1,0,1] neg_lo:[1,0,0] neg_hi:[1,0,0]
	v_pk_mul_f32 v[14:15], v[14:15], s[0:1] op_sel_hi:[1,0]
	s_mov_b32 s0, 0x3f737871
	v_pk_add_f32 v[68:69], v[12:13], v[14:15] op_sel:[0,1] op_sel_hi:[1,0] neg_lo:[0,1] neg_hi:[0,1]
	v_pk_add_f32 v[12:13], v[12:13], v[14:15] op_sel:[0,1] op_sel_hi:[1,0]
	v_mov_b32_e32 v14, v68
	v_mov_b32_e32 v15, v13
	;; [unrolled: 1-line block ×3, first 2 shown]
	ds_write2_b64 v178, v[92:93], v[14:15] offset1:8
	ds_write_b64 v178, v[12:13] offset:128
	s_waitcnt lgkmcnt(0)
	; wave barrier
	s_waitcnt lgkmcnt(0)
	ds_read2_b64 v[68:71], v127 offset0:96 offset1:152
	ds_read2_b64 v[12:15], v111 offset0:192 offset1:248
	;; [unrolled: 1-line block ×3, first 2 shown]
	ds_read_b64 v[80:81], v110 offset:6272
	ds_read2_b64 v[76:79], v110 offset0:112 offset1:168
	s_waitcnt lgkmcnt(4)
	v_pk_mul_f32 v[56:57], v[56:57], v[70:71]
	v_pk_mul_f32 v[40:41], v[40:41], v[68:69]
	v_pk_fma_f32 v[84:85], v[164:165], v[70:71], v[56:57] op_sel:[0,0,1] op_sel_hi:[1,1,0]
	v_pk_fma_f32 v[56:57], v[164:165], v[70:71], v[56:57] op_sel:[0,0,1] op_sel_hi:[1,1,0] neg_lo:[0,0,1] neg_hi:[0,0,1]
	s_waitcnt lgkmcnt(0)
	v_pk_mul_f32 v[32:33], v[32:33], v[78:79]
	v_mov_b32_e32 v85, v57
	v_pk_mul_f32 v[56:57], v[58:59], v[12:13]
	v_pk_mul_f32 v[26:27], v[26:27], v[14:15]
	v_pk_fma_f32 v[70:71], v[162:163], v[12:13], v[56:57] op_sel:[0,0,1] op_sel_hi:[1,1,0]
	v_pk_fma_f32 v[12:13], v[162:163], v[12:13], v[56:57] op_sel:[0,0,1] op_sel_hi:[1,1,0] neg_lo:[0,0,1] neg_hi:[0,0,1]
	v_pk_mul_f32 v[36:37], v[36:37], v[72:73]
	v_mov_b32_e32 v71, v13
	v_pk_mul_f32 v[12:13], v[52:53], v[74:75]
	v_pk_add_f32 v[52:53], v[84:85], v[70:71] neg_lo:[0,1] neg_hi:[0,1]
	v_pk_fma_f32 v[86:87], v[160:161], v[74:75], v[12:13] op_sel:[0,0,1] op_sel_hi:[1,1,0]
	v_pk_fma_f32 v[12:13], v[160:161], v[74:75], v[12:13] op_sel:[0,0,1] op_sel_hi:[1,1,0] neg_lo:[0,0,1] neg_hi:[0,0,1]
	s_nop 0
	v_mov_b32_e32 v87, v13
	v_pk_mul_f32 v[12:13], v[54:55], v[80:81]
	v_pk_add_f32 v[90:91], v[70:71], v[86:87] neg_lo:[0,1] neg_hi:[0,1]
	v_pk_fma_f32 v[74:75], v[158:159], v[80:81], v[12:13] op_sel:[0,0,1] op_sel_hi:[1,1,0]
	v_pk_fma_f32 v[12:13], v[158:159], v[80:81], v[12:13] op_sel:[0,0,1] op_sel_hi:[1,1,0] neg_lo:[0,0,1] neg_hi:[0,0,1]
	v_pk_fma_f32 v[158:159], v[156:157], v[68:69], v[40:41] op_sel:[0,0,1] op_sel_hi:[1,1,0]
	v_mov_b32_e32 v75, v13
	v_pk_add_f32 v[12:13], v[70:71], v[86:87]
	v_pk_add_f32 v[88:89], v[84:85], v[74:75] neg_lo:[0,1] neg_hi:[0,1]
	v_pk_fma_f32 v[12:13], v[12:13], 0.5, v[76:77] op_sel_hi:[1,0,1] neg_lo:[1,0,0] neg_hi:[1,0,0]
	v_pk_add_f32 v[54:55], v[74:75], v[86:87] neg_lo:[0,1] neg_hi:[0,1]
	v_pk_fma_f32 v[40:41], v[156:157], v[68:69], v[40:41] op_sel:[0,0,1] op_sel_hi:[1,1,0] neg_lo:[0,0,1] neg_hi:[0,0,1]
	v_pk_add_f32 v[92:93], v[52:53], v[54:55]
	v_pk_fma_f32 v[52:53], v[88:89], s[0:1], v[12:13] op_sel:[1,0,0] op_sel_hi:[0,0,1]
	v_pk_fma_f32 v[146:147], v[90:91], s[16:17], v[52:53] op_sel:[1,0,0] op_sel_hi:[0,0,1]
	ds_read2_b64 v[52:55], v110 offset1:56
	ds_read2_b64 v[56:59], v111 offset0:80 offset1:136
	ds_read2_b64 v[80:83], v135 offset0:160 offset1:216
	v_mov_b32_e32 v159, v41
	s_waitcnt lgkmcnt(0)
	; wave barrier
	s_waitcnt lgkmcnt(0)
	v_pk_mul_f32 v[40:41], v[42:43], v[58:59]
	v_pk_fma_f32 v[12:13], v[88:89], s[0:1], v[12:13] op_sel:[1,0,0] op_sel_hi:[0,0,1] neg_lo:[1,0,0] neg_hi:[1,0,0]
	v_pk_fma_f32 v[42:43], v[154:155], v[58:59], v[40:41] op_sel:[0,0,1] op_sel_hi:[1,1,0]
	v_pk_fma_f32 v[40:41], v[154:155], v[58:59], v[40:41] op_sel:[0,0,1] op_sel_hi:[1,1,0] neg_lo:[0,0,1] neg_hi:[0,0,1]
	v_pk_fma_f32 v[58:59], v[148:149], v[78:79], v[32:33] op_sel:[0,0,1] op_sel_hi:[1,1,0]
	v_pk_fma_f32 v[32:33], v[148:149], v[78:79], v[32:33] op_sel:[0,0,1] op_sel_hi:[1,1,0] neg_lo:[0,0,1] neg_hi:[0,0,1]
	v_mov_b32_e32 v43, v41
	v_mov_b32_e32 v59, v33
	v_pk_mul_f32 v[32:33], v[34:35], v[56:57]
	v_pk_fma_f32 v[40:41], v[152:153], v[72:73], v[36:37] op_sel:[0,0,1] op_sel_hi:[1,1,0]
	v_pk_fma_f32 v[34:35], v[144:145], v[56:57], v[32:33] op_sel:[0,0,1] op_sel_hi:[1,1,0]
	v_pk_fma_f32 v[32:33], v[144:145], v[56:57], v[32:33] op_sel:[0,0,1] op_sel_hi:[1,1,0] neg_lo:[0,0,1] neg_hi:[0,0,1]
	v_pk_fma_f32 v[36:37], v[152:153], v[72:73], v[36:37] op_sel:[0,0,1] op_sel_hi:[1,1,0] neg_lo:[0,0,1] neg_hi:[0,0,1]
	v_mov_b32_e32 v35, v33
	v_pk_fma_f32 v[32:33], v[106:107], v[14:15], v[26:27] op_sel:[0,0,1] op_sel_hi:[1,1,0]
	v_pk_fma_f32 v[14:15], v[106:107], v[14:15], v[26:27] op_sel:[0,0,1] op_sel_hi:[1,1,0] neg_lo:[0,0,1] neg_hi:[0,0,1]
	v_mov_b32_e32 v41, v37
	v_mov_b32_e32 v33, v15
	v_pk_mul_f32 v[14:15], v[28:29], v[80:81]
	v_pk_mul_f32 v[36:37], v[38:39], v[82:83]
	v_pk_fma_f32 v[26:27], v[98:99], v[80:81], v[14:15] op_sel:[0,0,1] op_sel_hi:[1,1,0]
	v_pk_fma_f32 v[14:15], v[98:99], v[80:81], v[14:15] op_sel:[0,0,1] op_sel_hi:[1,1,0] neg_lo:[0,0,1] neg_hi:[0,0,1]
	v_pk_add_f32 v[28:29], v[34:35], v[32:33]
	v_mov_b32_e32 v27, v15
	v_pk_add_f32 v[56:57], v[58:59], v[26:27] neg_lo:[0,1] neg_hi:[0,1]
	v_pk_fma_f32 v[38:39], v[150:151], v[82:83], v[36:37] op_sel:[0,0,1] op_sel_hi:[1,1,0]
	v_pk_fma_f32 v[36:37], v[150:151], v[82:83], v[36:37] op_sel:[0,0,1] op_sel_hi:[1,1,0] neg_lo:[0,0,1] neg_hi:[0,0,1]
	v_pk_fma_f32 v[28:29], v[28:29], 0.5, v[52:53] op_sel_hi:[1,0,1] neg_lo:[1,0,0] neg_hi:[1,0,0]
	v_pk_mul_f32 v[68:69], v[56:57], s[0:1] op_sel_hi:[1,0]
	v_pk_add_f32 v[72:73], v[34:35], v[32:33] neg_lo:[0,1] neg_hi:[0,1]
	v_pk_add_f32 v[80:81], v[58:59], v[34:35] neg_lo:[0,1] neg_hi:[0,1]
	;; [unrolled: 1-line block ×3, first 2 shown]
	v_pk_add_f32 v[14:15], v[52:53], v[58:59]
	v_pk_mul_f32 v[78:79], v[72:73], s[16:17] op_sel_hi:[1,0]
	v_pk_add_f32 v[80:81], v[80:81], v[82:83]
	v_pk_add_f32 v[82:83], v[28:29], v[68:69] op_sel:[0,1] op_sel_hi:[1,0] neg_lo:[0,1] neg_hi:[0,1]
	v_pk_add_f32 v[28:29], v[28:29], v[68:69] op_sel:[0,1] op_sel_hi:[1,0]
	v_pk_add_f32 v[14:15], v[14:15], v[34:35]
	v_pk_add_f32 v[28:29], v[28:29], v[78:79] op_sel:[0,1] op_sel_hi:[1,0]
	v_pk_add_f32 v[68:69], v[82:83], v[78:79] op_sel:[0,1] op_sel_hi:[1,0] neg_lo:[0,1] neg_hi:[0,1]
	v_pk_add_f32 v[14:15], v[14:15], v[32:33]
	v_mov_b32_e32 v78, v68
	v_mov_b32_e32 v79, v29
	v_pk_add_f32 v[14:15], v[14:15], v[26:27]
	v_pk_fma_f32 v[78:79], v[80:81], s[14:15], v[78:79] op_sel_hi:[1,0,1]
	ds_write2_b64 v192, v[14:15], v[78:79] offset1:24
	v_pk_add_f32 v[14:15], v[58:59], v[26:27]
	v_pk_add_f32 v[34:35], v[34:35], v[58:59] neg_lo:[0,1] neg_hi:[0,1]
	v_pk_fma_f32 v[14:15], v[14:15], 0.5, v[52:53] op_sel_hi:[1,0,1] neg_lo:[1,0,0] neg_hi:[1,0,0]
	v_pk_add_f32 v[26:27], v[32:33], v[26:27] neg_lo:[0,1] neg_hi:[0,1]
	v_pk_mul_f32 v[32:33], v[72:73], s[0:1] op_sel_hi:[1,0]
	v_pk_add_f32 v[26:27], v[34:35], v[26:27]
	v_pk_mul_f32 v[34:35], v[56:57], s[16:17] op_sel_hi:[1,0]
	v_pk_add_f32 v[52:53], v[14:15], v[32:33] op_sel:[0,1] op_sel_hi:[1,0]
	v_pk_add_f32 v[14:15], v[14:15], v[32:33] op_sel:[0,1] op_sel_hi:[1,0] neg_lo:[0,1] neg_hi:[0,1]
	v_pk_add_f32 v[32:33], v[52:53], v[34:35] op_sel:[0,1] op_sel_hi:[1,0] neg_lo:[0,1] neg_hi:[0,1]
	v_pk_add_f32 v[14:15], v[14:15], v[34:35] op_sel:[0,1] op_sel_hi:[1,0]
	v_mov_b32_e32 v34, v32
	v_mov_b32_e32 v35, v15
	;; [unrolled: 1-line block ×3, first 2 shown]
	v_pk_fma_f32 v[34:35], v[26:27], s[14:15], v[34:35] op_sel_hi:[1,0,1]
	v_pk_fma_f32 v[14:15], v[26:27], s[14:15], v[14:15] op_sel_hi:[1,0,1]
	v_mov_b32_e32 v29, v69
	v_mov_b32_e32 v39, v37
	ds_write2_b64 v192, v[34:35], v[14:15] offset0:48 offset1:72
	v_pk_fma_f32 v[14:15], v[80:81], s[14:15], v[28:29] op_sel_hi:[1,0,1]
	ds_write_b64 v192, v[14:15] offset:768
	v_pk_add_f32 v[14:15], v[42:43], v[40:41]
	v_pk_add_f32 v[26:27], v[158:159], v[38:39] neg_lo:[0,1] neg_hi:[0,1]
	v_pk_fma_f32 v[14:15], v[14:15], 0.5, v[54:55] op_sel_hi:[1,0,1] neg_lo:[1,0,0] neg_hi:[1,0,0]
	v_pk_mul_f32 v[28:29], v[26:27], s[0:1] op_sel_hi:[1,0]
	v_pk_add_f32 v[32:33], v[42:43], v[40:41] neg_lo:[0,1] neg_hi:[0,1]
	v_pk_add_f32 v[52:53], v[158:159], v[42:43] neg_lo:[0,1] neg_hi:[0,1]
	v_pk_add_f32 v[56:57], v[38:39], v[40:41] neg_lo:[0,1] neg_hi:[0,1]
	v_pk_add_f32 v[36:37], v[54:55], v[158:159]
	v_pk_mul_f32 v[34:35], v[32:33], s[16:17] op_sel_hi:[1,0]
	v_pk_add_f32 v[52:53], v[52:53], v[56:57]
	v_pk_add_f32 v[56:57], v[14:15], v[28:29] op_sel:[0,1] op_sel_hi:[1,0] neg_lo:[0,1] neg_hi:[0,1]
	v_pk_add_f32 v[14:15], v[14:15], v[28:29] op_sel:[0,1] op_sel_hi:[1,0]
	v_pk_add_f32 v[36:37], v[36:37], v[42:43]
	v_pk_add_f32 v[14:15], v[14:15], v[34:35] op_sel:[0,1] op_sel_hi:[1,0]
	v_pk_add_f32 v[28:29], v[56:57], v[34:35] op_sel:[0,1] op_sel_hi:[1,0] neg_lo:[0,1] neg_hi:[0,1]
	v_pk_add_f32 v[36:37], v[36:37], v[40:41]
	v_mov_b32_e32 v34, v28
	v_mov_b32_e32 v35, v15
	v_pk_add_f32 v[36:37], v[36:37], v[38:39]
	v_pk_fma_f32 v[34:35], v[52:53], s[14:15], v[34:35] op_sel_hi:[1,0,1]
	ds_write2_b64 v184, v[36:37], v[34:35] offset1:24
	v_pk_add_f32 v[34:35], v[158:159], v[38:39]
	v_pk_add_f32 v[36:37], v[42:43], v[158:159] neg_lo:[0,1] neg_hi:[0,1]
	v_pk_fma_f32 v[34:35], v[34:35], 0.5, v[54:55] op_sel_hi:[1,0,1] neg_lo:[1,0,0] neg_hi:[1,0,0]
	v_pk_add_f32 v[38:39], v[40:41], v[38:39] neg_lo:[0,1] neg_hi:[0,1]
	v_pk_mul_f32 v[32:33], v[32:33], s[0:1] op_sel_hi:[1,0]
	v_mov_b32_e32 v15, v29
	v_pk_add_f32 v[36:37], v[36:37], v[38:39]
	v_pk_mul_f32 v[26:27], v[26:27], s[16:17] op_sel_hi:[1,0]
	v_pk_add_f32 v[38:39], v[34:35], v[32:33] op_sel:[0,1] op_sel_hi:[1,0]
	v_pk_add_f32 v[32:33], v[34:35], v[32:33] op_sel:[0,1] op_sel_hi:[1,0] neg_lo:[0,1] neg_hi:[0,1]
	v_pk_fma_f32 v[14:15], v[52:53], s[14:15], v[14:15] op_sel_hi:[1,0,1]
	v_pk_add_f32 v[32:33], v[32:33], v[26:27] op_sel:[0,1] op_sel_hi:[1,0]
	v_pk_add_f32 v[26:27], v[38:39], v[26:27] op_sel:[0,1] op_sel_hi:[1,0] neg_lo:[0,1] neg_hi:[0,1]
	ds_write_b64 v184, v[14:15] offset:768
	v_pk_add_f32 v[14:15], v[76:77], v[84:85]
	v_pk_fma_f32 v[94:95], v[90:91], s[16:17], v[12:13] op_sel:[1,0,0] op_sel_hi:[0,0,1] neg_lo:[1,0,0] neg_hi:[1,0,0]
	v_mov_b32_e32 v34, v26
	v_mov_b32_e32 v35, v33
	;; [unrolled: 1-line block ×3, first 2 shown]
	v_pk_add_f32 v[14:15], v[14:15], v[70:71]
	v_mov_b32_e32 v13, v95
	v_pk_fma_f32 v[34:35], v[36:37], s[14:15], v[34:35] op_sel_hi:[1,0,1]
	v_pk_fma_f32 v[26:27], v[36:37], s[14:15], v[32:33] op_sel_hi:[1,0,1]
	v_pk_add_f32 v[14:15], v[14:15], v[86:87]
	v_mov_b32_e32 v95, v147
	ds_write2_b64 v184, v[34:35], v[26:27] offset0:48 offset1:72
	v_pk_add_f32 v[14:15], v[14:15], v[74:75]
	v_pk_fma_f32 v[26:27], v[92:93], s[14:15], v[94:95] op_sel_hi:[1,0,1]
	ds_write2_b64 v179, v[14:15], v[26:27] offset1:24
	v_pk_add_f32 v[14:15], v[84:85], v[74:75]
	v_pk_add_f32 v[26:27], v[70:71], v[84:85] neg_lo:[0,1] neg_hi:[0,1]
	v_pk_fma_f32 v[14:15], v[14:15], 0.5, v[76:77] op_sel_hi:[1,0,1] neg_lo:[1,0,0] neg_hi:[1,0,0]
	v_pk_add_f32 v[28:29], v[86:87], v[74:75] neg_lo:[0,1] neg_hi:[0,1]
	v_mov_b32_e32 v12, v146
	v_pk_add_f32 v[26:27], v[26:27], v[28:29]
	v_pk_fma_f32 v[28:29], v[90:91], s[0:1], v[14:15] op_sel:[1,0,0] op_sel_hi:[0,0,1]
	v_pk_fma_f32 v[14:15], v[90:91], s[0:1], v[14:15] op_sel:[1,0,0] op_sel_hi:[0,0,1] neg_lo:[1,0,0] neg_hi:[1,0,0]
	v_pk_fma_f32 v[14:15], v[88:89], s[16:17], v[14:15] op_sel:[1,0,0] op_sel_hi:[0,0,1]
	v_pk_fma_f32 v[28:29], v[88:89], s[16:17], v[28:29] op_sel:[1,0,0] op_sel_hi:[0,0,1] neg_lo:[1,0,0] neg_hi:[1,0,0]
	v_mov_b32_e32 v32, v28
	v_mov_b32_e32 v33, v15
	;; [unrolled: 1-line block ×3, first 2 shown]
	v_pk_fma_f32 v[32:33], v[26:27], s[14:15], v[32:33] op_sel_hi:[1,0,1]
	v_pk_fma_f32 v[14:15], v[26:27], s[14:15], v[14:15] op_sel_hi:[1,0,1]
	;; [unrolled: 1-line block ×3, first 2 shown]
	ds_write2_b64 v179, v[32:33], v[14:15] offset0:48 offset1:72
	ds_write_b64 v179, v[12:13] offset:768
	s_waitcnt lgkmcnt(0)
	; wave barrier
	s_waitcnt lgkmcnt(0)
	ds_read2_b64 v[32:35], v110 offset1:56
	ds_read2_b64 v[40:43], v110 offset0:120 offset1:176
	ds_read2_b64 v[36:39], v127 offset0:112 offset1:168
	;; [unrolled: 1-line block ×3, first 2 shown]
	v_add_u32_e32 v14, 0xc00, v110
	ds_read2_b64 v[68:71], v14 offset0:96 offset1:152
	ds_read2_b64 v[52:55], v135 offset0:88 offset1:144
	v_add_u32_e32 v14, 0x1400, v110
	ds_read2_b64 v[56:59], v14 offset0:80 offset1:136
                                        ; implicit-def: $vgpr14_vgpr15
                                        ; implicit-def: $vgpr26_vgpr27
	s_and_saveexec_b64 s[0:1], s[4:5]
	s_xor_b64 s[0:1], exec, s[0:1]
; %bb.34:
	v_mov_b32_e32 v26, v96
	v_mov_b32_e32 v27, v105
	;; [unrolled: 1-line block ×4, first 2 shown]
; %bb.35:
	s_andn2_saveexec_b64 s[0:1], s[0:1]
	s_cbranch_execz .LBB0_37
; %bb.36:
	v_add_u32_e32 v12, 0x800, v110
	v_add_u32_e32 v28, 0x1000, v110
	ds_read_b64 v[76:77], v110 offset:6656
	ds_read2_b64 v[24:27], v12 offset0:96 offset1:216
	ds_read2_b64 v[12:15], v110 offset0:112 offset1:232
	;; [unrolled: 1-line block ×3, first 2 shown]
	s_waitcnt lgkmcnt(3)
	v_mov_b32_e32 v100, v76
	s_waitcnt lgkmcnt(2)
	v_mov_b32_e32 v101, v27
	v_mov_b32_e32 v102, v77
	;; [unrolled: 1-line block ×3, first 2 shown]
	s_waitcnt lgkmcnt(1)
	v_mov_b32_e32 v26, v14
	s_waitcnt lgkmcnt(0)
	v_mov_b32_e32 v27, v29
	v_mov_b32_e32 v14, v15
	;; [unrolled: 1-line block ×3, first 2 shown]
.LBB0_37:
	s_or_b64 exec, exec, s[0:1]
	s_waitcnt lgkmcnt(3)
	v_pk_mul_f32 v[86:87], v[60:61], v[72:73] op_sel:[0,1] op_sel_hi:[1,0]
	v_pk_mul_f32 v[28:29], v[48:49], v[40:41] op_sel_hi:[1,0]
	v_mov_b32_e32 v76, v41
	v_mov_b32_e32 v86, v87
	s_waitcnt lgkmcnt(2)
	v_pk_mul_f32 v[88:89], v[62:63], v[68:69] op_sel:[0,1] op_sel_hi:[1,0]
	v_pk_mul_f32 v[78:79], v[50:51], v[36:37] op_sel_hi:[1,0]
	v_mov_b32_e32 v80, v37
	v_pk_mul_f32 v[82:83], v[60:61], v[72:73]
	v_mov_b32_e32 v84, v61
	v_pk_fma_f32 v[60:61], v[60:61], v[72:73], v[86:87] op_sel:[0,1,0] op_sel_hi:[1,0,1] neg_lo:[0,0,1] neg_hi:[0,0,1]
	v_mov_b32_e32 v86, v63
	v_mov_b32_e32 v88, v89
	v_pk_fma_f32 v[76:77], v[48:49], v[76:77], v[28:29] op_sel:[0,0,1] op_sel_hi:[1,1,0] neg_lo:[0,0,1] neg_hi:[0,0,1]
	v_pk_fma_f32 v[28:29], v[48:49], v[40:41], v[28:29] op_sel:[0,1,1] op_sel_hi:[1,1,0]
	v_pk_mul_f32 v[84:85], v[84:85], v[72:73] op_sel:[0,1] op_sel_hi:[1,0]
	v_pk_mul_f32 v[72:73], v[62:63], v[68:69]
	v_pk_mul_f32 v[86:87], v[86:87], v[68:69] op_sel:[0,1] op_sel_hi:[1,0]
	v_pk_fma_f32 v[62:63], v[62:63], v[68:69], v[88:89] op_sel:[0,1,0] op_sel_hi:[1,0,1] neg_lo:[0,0,1] neg_hi:[0,0,1]
	s_waitcnt lgkmcnt(1)
	v_pk_mul_f32 v[68:69], v[44:45], v[52:53] op_sel_hi:[1,0]
	v_mov_b32_e32 v88, v53
	v_mov_b32_e32 v77, v29
	v_pk_fma_f32 v[28:29], v[50:51], v[80:81], v[78:79] op_sel:[0,0,1] op_sel_hi:[1,1,0] neg_lo:[0,0,1] neg_hi:[0,0,1]
	v_pk_fma_f32 v[36:37], v[50:51], v[36:37], v[78:79] op_sel:[0,1,1] op_sel_hi:[1,1,0]
	s_waitcnt lgkmcnt(0)
	v_pk_mul_f32 v[90:91], v[46:47], v[56:57] op_sel_hi:[1,0]
	v_mov_b32_e32 v92, v57
	v_mov_b32_e32 v29, v37
	v_pk_fma_f32 v[36:37], v[44:45], v[88:89], v[68:69] op_sel:[0,0,1] op_sel_hi:[1,1,0] neg_lo:[0,0,1] neg_hi:[0,0,1]
	v_pk_fma_f32 v[40:41], v[44:45], v[52:53], v[68:69] op_sel:[0,1,1] op_sel_hi:[1,1,0]
	v_pk_fma_f32 v[44:45], v[46:47], v[56:57], v[90:91] op_sel:[0,1,1] op_sel_hi:[1,1,0]
	v_mov_b32_e32 v37, v41
	v_pk_fma_f32 v[40:41], v[46:47], v[92:93], v[90:91] op_sel:[0,0,1] op_sel_hi:[1,1,0] neg_lo:[0,0,1] neg_hi:[0,0,1]
	v_mov_b32_e32 v73, v76
	v_mov_b32_e32 v41, v45
	;; [unrolled: 1-line block ×5, first 2 shown]
	v_pk_add_f32 v[44:45], v[76:77], v[40:41]
	v_pk_add_f32 v[46:47], v[76:77], v[40:41] neg_lo:[0,1] neg_hi:[0,1]
	v_pk_add_f32 v[48:49], v[28:29], v[36:37]
	v_pk_add_f32 v[50:51], v[28:29], v[36:37] neg_lo:[0,1] neg_hi:[0,1]
	v_pk_add_f32 v[40:41], v[72:73], v[86:87]
	v_pk_add_f32 v[28:29], v[82:83], v[84:85]
	v_mov_b32_e32 v63, v40
	v_mov_b32_e32 v61, v28
	v_pk_add_f32 v[36:37], v[62:63], v[60:61] neg_lo:[0,1] neg_hi:[0,1]
	v_mov_b32_e32 v72, v49
	v_mov_b32_e32 v73, v60
	;; [unrolled: 1-line block ×8, first 2 shown]
	s_mov_b32 s4, 0x3f08b237
	v_pk_add_f32 v[60:61], v[72:73], v[60:61]
	v_pk_add_f32 v[62:63], v[28:29], v[40:41]
	s_mov_b32 s20, 0x3d64c772
	v_pk_add_f32 v[52:53], v[52:53], v[56:57] neg_lo:[0,1] neg_hi:[0,1]
	s_mov_b32 s5, 0xbeae86e6
	v_mov_b32_e32 v56, v46
	v_mov_b32_e32 v68, v36
	;; [unrolled: 1-line block ×8, first 2 shown]
	s_mov_b32 s21, 0x3f4a47b2
	v_pk_add_f32 v[56:57], v[56:57], v[68:69] neg_lo:[0,1] neg_hi:[0,1]
	s_mov_b32 s14, s5
	s_mov_b32 s15, s4
	v_pk_add_f32 v[72:73], v[40:41], v[72:73] neg_lo:[0,1] neg_hi:[0,1]
	v_pk_add_f32 v[76:77], v[76:77], v[28:29] neg_lo:[0,1] neg_hi:[0,1]
	s_mov_b32 s22, s21
	s_mov_b32 s23, s20
	v_pk_mul_f32 v[52:53], v[52:53], s[4:5]
	v_pk_mul_f32 v[68:69], v[56:57], s[14:15]
	v_pk_add_f32 v[36:37], v[36:37], v[50:51]
	v_pk_add_f32 v[60:61], v[60:61], v[62:63]
	v_pk_mul_f32 v[62:63], v[72:73], s[20:21]
	v_pk_mul_f32 v[72:73], v[76:77], s[22:23]
	v_mov_b32_e32 v28, v49
	v_mov_b32_e32 v40, v45
	v_pk_add_f32 v[36:37], v[36:37], v[46:47]
	v_pk_add_f32 v[32:33], v[32:33], v[60:61]
	s_mov_b32 s24, 0x3f955555
	v_pk_add_f32 v[46:47], v[50:51], v[46:47] neg_lo:[0,1] neg_hi:[0,1]
	s_mov_b32 s16, 0xbf5ff5aa
	v_pk_add_f32 v[28:29], v[28:29], v[40:41] neg_lo:[0,1] neg_hi:[0,1]
	s_mov_b32 s18, 0x3f3bfb3b
	v_mov_b32_e32 v40, v72
	v_mov_b32_e32 v41, v63
	;; [unrolled: 1-line block ×4, first 2 shown]
	s_mov_b32 s0, 0xbee1c552
	v_pk_fma_f32 v[60:61], v[60:61], s[24:25], v[32:33] op_sel_hi:[1,0,1] neg_lo:[1,0,0] neg_hi:[1,0,0]
	v_pk_fma_f32 v[40:41], v[28:29], s[18:19], v[40:41] op_sel_hi:[1,0,1] neg_lo:[1,0,1] neg_hi:[1,0,1]
	;; [unrolled: 1-line block ×3, first 2 shown]
	v_pk_add_f32 v[40:41], v[40:41], v[60:61]
	v_pk_fma_f32 v[44:45], v[36:37], s[0:1], v[44:45] op_sel_hi:[1,0,1]
	v_pk_fma_f32 v[76:77], v[76:77], s[22:23], v[62:63]
	v_pk_add_f32 v[48:49], v[40:41], v[44:45]
	v_pk_add_f32 v[40:41], v[40:41], v[44:45] neg_lo:[0,1] neg_hi:[0,1]
	v_pk_fma_f32 v[56:57], v[56:57], s[14:15], v[52:53]
	v_mov_b32_e32 v44, v48
	v_mov_b32_e32 v45, v41
	;; [unrolled: 1-line block ×4, first 2 shown]
	ds_write_b64 v110, v[44:45] offset:1920
	v_pk_fma_f32 v[28:29], v[28:29], s[18:19], v[62:63] op_sel_hi:[1,0,1] neg_lo:[0,0,1] neg_hi:[0,0,1]
	v_pk_fma_f32 v[44:45], v[46:47], s[16:17], v[52:53] op_sel_hi:[1,0,1] neg_lo:[0,0,1] neg_hi:[0,0,1]
	v_pk_fma_f32 v[56:57], v[36:37], s[0:1], v[56:57] op_sel_hi:[1,0,1]
	v_pk_add_f32 v[28:29], v[28:29], v[60:61]
	v_pk_fma_f32 v[36:37], v[36:37], s[0:1], v[44:45] op_sel_hi:[1,0,1]
	v_pk_mul_f32 v[146:147], v[64:65], v[74:75] op_sel:[0,1] op_sel_hi:[1,0]
	v_pk_add_f32 v[44:45], v[28:29], v[36:37] neg_lo:[0,1] neg_hi:[0,1]
	v_pk_add_f32 v[28:29], v[28:29], v[36:37]
	v_pk_mul_f32 v[94:95], v[20:21], v[42:43] op_sel_hi:[1,0]
	v_mov_b32_e32 v96, v43
	v_mov_b32_e32 v146, v147
	v_pk_mul_f32 v[148:149], v[66:67], v[70:71] op_sel:[0,1] op_sel_hi:[1,0]
	v_mov_b32_e32 v37, v29
	v_mov_b32_e32 v29, v45
	v_pk_mul_f32 v[98:99], v[22:23], v[38:39] op_sel_hi:[1,0]
	v_mov_b32_e32 v104, v39
	v_pk_mul_f32 v[106:107], v[64:65], v[74:75]
	v_mov_b32_e32 v144, v65
	v_pk_fma_f32 v[64:65], v[64:65], v[74:75], v[146:147] op_sel:[0,1,0] op_sel_hi:[1,0,1] neg_lo:[0,0,1] neg_hi:[0,0,1]
	v_mov_b32_e32 v146, v67
	v_mov_b32_e32 v148, v149
	ds_write_b64 v110, v[28:29] offset:3840
	v_pk_fma_f32 v[28:29], v[20:21], v[96:97], v[94:95] op_sel:[0,0,1] op_sel_hi:[1,1,0] neg_lo:[0,0,1] neg_hi:[0,0,1]
	v_pk_fma_f32 v[20:21], v[20:21], v[42:43], v[94:95] op_sel:[0,1,1] op_sel_hi:[1,1,0]
	v_pk_mul_f32 v[144:145], v[144:145], v[74:75] op_sel:[0,1] op_sel_hi:[1,0]
	v_pk_mul_f32 v[74:75], v[66:67], v[70:71]
	v_pk_mul_f32 v[146:147], v[146:147], v[70:71] op_sel:[0,1] op_sel_hi:[1,0]
	v_pk_fma_f32 v[66:67], v[66:67], v[70:71], v[148:149] op_sel:[0,1,0] op_sel_hi:[1,0,1] neg_lo:[0,0,1] neg_hi:[0,0,1]
	v_pk_mul_f32 v[70:71], v[16:17], v[54:55] op_sel_hi:[1,0]
	v_mov_b32_e32 v148, v55
	v_mov_b32_e32 v29, v21
	v_pk_fma_f32 v[20:21], v[22:23], v[104:105], v[98:99] op_sel:[0,0,1] op_sel_hi:[1,1,0] neg_lo:[0,0,1] neg_hi:[0,0,1]
	v_pk_fma_f32 v[22:23], v[22:23], v[38:39], v[98:99] op_sel:[0,1,1] op_sel_hi:[1,1,0]
	v_pk_mul_f32 v[150:151], v[18:19], v[58:59] op_sel_hi:[1,0]
	v_mov_b32_e32 v152, v59
	v_mov_b32_e32 v21, v23
	v_pk_fma_f32 v[22:23], v[16:17], v[148:149], v[70:71] op_sel:[0,0,1] op_sel_hi:[1,1,0] neg_lo:[0,0,1] neg_hi:[0,0,1]
	v_pk_fma_f32 v[16:17], v[16:17], v[54:55], v[70:71] op_sel:[0,1,1] op_sel_hi:[1,1,0]
	v_mov_b32_e32 v36, v44
	v_mov_b32_e32 v23, v17
	v_pk_fma_f32 v[16:17], v[18:19], v[152:153], v[150:151] op_sel:[0,0,1] op_sel_hi:[1,1,0] neg_lo:[0,0,1] neg_hi:[0,0,1]
	v_pk_fma_f32 v[18:19], v[18:19], v[58:59], v[150:151] op_sel:[0,1,1] op_sel_hi:[1,1,0]
	v_mov_b32_e32 v41, v49
	v_mov_b32_e32 v17, v19
	;; [unrolled: 1-line block ×6, first 2 shown]
	ds_write_b64 v110, v[36:37] offset:2880
	ds_write_b64 v110, v[40:41] offset:4800
	v_pk_add_f32 v[18:19], v[28:29], v[16:17]
	v_pk_add_f32 v[36:37], v[28:29], v[16:17] neg_lo:[0,1] neg_hi:[0,1]
	v_pk_add_f32 v[38:39], v[20:21], v[22:23]
	v_pk_add_f32 v[40:41], v[20:21], v[22:23] neg_lo:[0,1] neg_hi:[0,1]
	v_pk_add_f32 v[16:17], v[74:75], v[146:147]
	v_pk_add_f32 v[20:21], v[106:107], v[144:145]
	v_mov_b32_e32 v67, v16
	v_mov_b32_e32 v65, v20
	;; [unrolled: 1-line block ×6, first 2 shown]
	v_pk_add_f32 v[22:23], v[66:67], v[64:65] neg_lo:[0,1] neg_hi:[0,1]
	v_pk_add_f32 v[46:47], v[46:47], v[48:49]
	v_pk_add_f32 v[48:49], v[20:21], v[16:17]
	v_mov_b32_e32 v28, v22
	v_mov_b32_e32 v29, v37
	;; [unrolled: 1-line block ×7, first 2 shown]
	v_pk_add_f32 v[28:29], v[28:29], v[42:43] neg_lo:[0,1] neg_hi:[0,1]
	v_mov_b32_e32 v42, v36
	v_mov_b32_e32 v44, v22
	;; [unrolled: 1-line block ×3, first 2 shown]
	v_pk_add_f32 v[50:51], v[16:17], v[50:51] neg_lo:[0,1] neg_hi:[0,1]
	v_mov_b32_e32 v52, v19
	v_mov_b32_e32 v53, v47
	;; [unrolled: 1-line block ×3, first 2 shown]
	v_pk_add_f32 v[46:47], v[46:47], v[48:49]
	v_pk_mul_f32 v[28:29], v[28:29], s[4:5]
	v_pk_add_f32 v[42:43], v[42:43], v[44:45] neg_lo:[0,1] neg_hi:[0,1]
	v_pk_add_f32 v[22:23], v[22:23], v[40:41]
	v_pk_add_f32 v[52:53], v[52:53], v[20:21] neg_lo:[0,1] neg_hi:[0,1]
	v_pk_add_f32 v[34:35], v[34:35], v[46:47]
	v_pk_mul_f32 v[48:49], v[50:51], s[20:21]
	v_pk_add_f32 v[76:77], v[76:77], v[60:61]
	v_pk_mul_f32 v[44:45], v[42:43], s[14:15]
	;; [unrolled: 2-line block ×3, first 2 shown]
	v_pk_fma_f32 v[46:47], v[46:47], s[24:25], v[34:35] op_sel_hi:[1,0,1] neg_lo:[1,0,0] neg_hi:[1,0,0]
	v_pk_fma_f32 v[52:53], v[52:53], s[22:23], v[48:49]
	v_pk_fma_f32 v[42:43], v[42:43], s[14:15], v[28:29]
	v_pk_add_f32 v[78:79], v[76:77], v[56:57]
	v_pk_add_f32 v[56:57], v[76:77], v[56:57] neg_lo:[0,1] neg_hi:[0,1]
	v_pk_add_f32 v[52:53], v[52:53], v[46:47]
	v_pk_fma_f32 v[42:43], v[22:23], s[0:1], v[42:43] op_sel_hi:[1,0,1]
	v_mov_b32_e32 v76, v78
	v_mov_b32_e32 v77, v57
	;; [unrolled: 1-line block ×3, first 2 shown]
	v_pk_add_f32 v[54:55], v[52:53], v[42:43]
	v_pk_add_f32 v[42:43], v[52:53], v[42:43] neg_lo:[0,1] neg_hi:[0,1]
	ds_write_b64 v110, v[76:77] offset:960
	ds_write_b64 v110, v[56:57] offset:5760
	ds_write2_b64 v110, v[32:33], v[34:35] offset1:56
	v_mov_b32_e32 v32, v54
	v_mov_b32_e32 v33, v43
	;; [unrolled: 1-line block ×4, first 2 shown]
	ds_write_b64 v110, v[32:33] offset:1408
	v_pk_add_f32 v[32:33], v[40:41], v[36:37] neg_lo:[0,1] neg_hi:[0,1]
	v_pk_add_f32 v[16:17], v[20:21], v[16:17] neg_lo:[0,1] neg_hi:[0,1]
	v_mov_b32_e32 v18, v50
	v_mov_b32_e32 v19, v49
	;; [unrolled: 1-line block ×4, first 2 shown]
	v_pk_fma_f32 v[18:19], v[16:17], s[18:19], v[18:19] op_sel_hi:[1,0,1] neg_lo:[1,0,1] neg_hi:[1,0,1]
	v_pk_fma_f32 v[20:21], v[32:33], s[16:17], v[20:21] op_sel_hi:[1,0,1] neg_lo:[1,0,1] neg_hi:[1,0,1]
	v_pk_add_f32 v[18:19], v[18:19], v[46:47]
	v_pk_fma_f32 v[20:21], v[22:23], s[0:1], v[20:21] op_sel_hi:[1,0,1]
	v_mov_b32_e32 v49, v51
	v_pk_add_f32 v[34:35], v[18:19], v[20:21]
	v_pk_add_f32 v[18:19], v[18:19], v[20:21] neg_lo:[0,1] neg_hi:[0,1]
	v_mov_b32_e32 v20, v34
	v_mov_b32_e32 v21, v19
	;; [unrolled: 1-line block ×3, first 2 shown]
	ds_write_b64 v110, v[20:21] offset:2368
	v_pk_fma_f32 v[16:17], v[16:17], s[18:19], v[48:49] op_sel_hi:[1,0,1] neg_lo:[0,0,1] neg_hi:[0,0,1]
	v_pk_fma_f32 v[20:21], v[32:33], s[16:17], v[28:29] op_sel_hi:[1,0,1] neg_lo:[0,0,1] neg_hi:[0,0,1]
	v_pk_add_f32 v[16:17], v[16:17], v[46:47]
	v_pk_fma_f32 v[20:21], v[22:23], s[0:1], v[20:21] op_sel_hi:[1,0,1]
	v_mov_b32_e32 v19, v35
	v_pk_add_f32 v[22:23], v[16:17], v[20:21] neg_lo:[0,1] neg_hi:[0,1]
	v_pk_add_f32 v[16:17], v[16:17], v[20:21]
	v_mov_b32_e32 v20, v22
	v_mov_b32_e32 v21, v17
	;; [unrolled: 1-line block ×4, first 2 shown]
	ds_write_b64 v110, v[20:21] offset:3328
	ds_write_b64 v110, v[16:17] offset:4288
	;; [unrolled: 1-line block ×4, first 2 shown]
	s_and_saveexec_b64 s[24:25], s[2:3]
	s_cbranch_execz .LBB0_39
; %bb.38:
	v_mov_b32_e32 v36, v3
	v_mov_b32_e32 v37, v7
	;; [unrolled: 1-line block ×4, first 2 shown]
	v_pk_mul_f32 v[36:37], v[36:37], v[38:39]
	v_mov_b32_e32 v39, v8
	v_mov_b32_e32 v45, v9
	v_pk_mul_f32 v[8:9], v[8:9], v[30:31]
	v_mov_b32_e32 v29, v6
	v_pk_mul_f32 v[6:7], v[6:7], v[24:25]
	v_mov_b32_e32 v24, v8
	v_mov_b32_e32 v8, v11
	;; [unrolled: 1-line block ×5, first 2 shown]
	v_pk_mul_f32 v[8:9], v[8:9], v[100:101]
	v_mov_b32_e32 v18, v5
	v_mov_b32_e32 v19, v3
	;; [unrolled: 1-line block ×8, first 2 shown]
	v_pk_fma_f32 v[8:9], v[10:11], v[102:103], v[8:9] neg_lo:[0,0,1] neg_hi:[0,0,1]
	v_mov_b32_e32 v10, v5
	v_mov_b32_e32 v16, v4
	;; [unrolled: 1-line block ×3, first 2 shown]
	v_pk_mul_f32 v[18:19], v[18:19], v[14:15]
	v_mov_b32_e32 v21, v0
	v_pk_mul_f32 v[22:23], v[22:23], v[102:103]
	v_mov_b32_e32 v28, v2
	v_mov_b32_e32 v32, v15
	;; [unrolled: 1-line block ×7, first 2 shown]
	v_pk_mul_f32 v[44:45], v[44:45], v[46:47]
	v_pk_mul_f32 v[10:11], v[10:11], v[26:27]
	v_pk_add_f32 v[6:7], v[24:25], v[6:7]
	v_pk_fma_f32 v[4:5], v[4:5], v[14:15], v[10:11] neg_lo:[0,0,1] neg_hi:[0,0,1]
	v_pk_fma_f32 v[24:25], v[20:21], v[100:101], v[22:23]
	v_pk_fma_f32 v[20:21], v[20:21], v[100:101], v[22:23] neg_lo:[0,0,1] neg_hi:[0,0,1]
	v_pk_fma_f32 v[22:23], v[16:17], v[26:27], v[18:19]
	;; [unrolled: 2-line block ×4, first 2 shown]
	v_pk_fma_f32 v[26:27], v[28:29], v[34:35], v[36:37] neg_lo:[0,0,1] neg_hi:[0,0,1]
	v_pk_add_f32 v[10:11], v[8:9], v[4:5]
	v_mov_b32_e32 v14, v7
	v_mov_b32_e32 v25, v21
	;; [unrolled: 1-line block ×7, first 2 shown]
	v_pk_add_f32 v[14:15], v[6:7], v[14:15]
	v_pk_add_f32 v[28:29], v[24:25], v[22:23]
	;; [unrolled: 1-line block ×3, first 2 shown]
	v_pk_add_f32 v[4:5], v[4:5], v[8:9] neg_lo:[0,1] neg_hi:[0,1]
	v_mov_b32_e32 v8, v17
	v_mov_b32_e32 v9, v2
	;; [unrolled: 1-line block ×7, first 2 shown]
	v_pk_add_f32 v[0:1], v[8:9], v[2:3] neg_lo:[0,1] neg_hi:[0,1]
	v_mov_b32_e32 v2, v27
	v_mov_b32_e32 v3, v7
	;; [unrolled: 1-line block ×4, first 2 shown]
	v_pk_add_f32 v[36:37], v[36:37], v[14:15] neg_lo:[0,1] neg_hi:[0,1]
	v_mov_b32_e32 v15, v31
	v_mov_b32_e32 v38, v28
	;; [unrolled: 1-line block ×3, first 2 shown]
	v_pk_add_f32 v[2:3], v[2:3], v[8:9] neg_lo:[0,1] neg_hi:[0,1]
	v_pk_add_f32 v[32:33], v[28:29], v[30:31] neg_lo:[0,1] neg_hi:[0,1]
	v_pk_add_f32 v[10:11], v[14:15], v[38:39]
	v_mov_b32_e32 v31, v29
	v_mov_b32_e32 v16, v0
	;; [unrolled: 1-line block ×5, first 2 shown]
	v_pk_add_f32 v[10:11], v[30:31], v[10:11]
	v_mov_b32_e32 v6, v4
	v_mov_b32_e32 v7, v1
	;; [unrolled: 1-line block ×4, first 2 shown]
	v_pk_add_f32 v[16:17], v[16:17], v[18:19] neg_lo:[0,1] neg_hi:[0,1]
	v_pk_mul_f32 v[36:37], v[36:37], s[20:21]
	v_pk_add_f32 v[12:13], v[12:13], v[10:11]
	s_mov_b32 s2, 0xbf955555
	v_pk_add_f32 v[6:7], v[6:7], v[8:9] neg_lo:[0,1] neg_hi:[0,1]
	v_pk_mul_f32 v[16:17], v[16:17], s[4:5]
	v_pk_add_f32 v[0:1], v[0:1], v[2:3]
	v_pk_mul_f32 v[34:35], v[32:33], s[22:23]
	v_pk_fma_f32 v[32:33], v[32:33], s[22:23], v[36:37]
	v_pk_fma_f32 v[10:11], v[10:11], s[2:3], v[12:13] op_sel_hi:[1,0,1]
	v_pk_mul_f32 v[8:9], v[6:7], s[14:15]
	v_pk_fma_f32 v[6:7], v[6:7], s[14:15], v[16:17]
	v_pk_add_f32 v[0:1], v[0:1], v[4:5]
	v_pk_add_f32 v[28:29], v[32:33], v[10:11]
	v_pk_fma_f32 v[6:7], v[0:1], s[0:1], v[6:7] op_sel_hi:[1,0,1]
	v_pk_add_f32 v[2:3], v[2:3], v[4:5] neg_lo:[0,1] neg_hi:[0,1]
	v_pk_add_f32 v[18:19], v[28:29], v[6:7] neg_lo:[0,1] neg_hi:[0,1]
	v_pk_add_f32 v[6:7], v[28:29], v[6:7]
	v_mov_b32_e32 v21, v19
	v_mov_b32_e32 v20, v6
	;; [unrolled: 1-line block ×5, first 2 shown]
	ds_write2_b64 v110, v[12:13], v[20:21] offset0:112 offset1:232
	v_mov_b32_e32 v12, v34
	v_mov_b32_e32 v13, v37
	v_pk_add_f32 v[14:15], v[14:15], v[38:39] neg_lo:[0,1] neg_hi:[0,1]
	v_pk_fma_f32 v[4:5], v[2:3], s[16:17], v[4:5] op_sel_hi:[1,0,1] neg_lo:[1,0,1] neg_hi:[1,0,1]
	v_pk_fma_f32 v[2:3], v[2:3], s[16:17], v[16:17] op_sel_hi:[1,0,1] neg_lo:[0,0,1] neg_hi:[0,0,1]
	v_mov_b32_e32 v37, v35
	v_pk_fma_f32 v[12:13], v[14:15], s[18:19], v[12:13] op_sel_hi:[1,0,1] neg_lo:[1,0,1] neg_hi:[1,0,1]
	v_pk_fma_f32 v[4:5], v[0:1], s[0:1], v[4:5] op_sel_hi:[1,0,1]
	v_pk_fma_f32 v[0:1], v[0:1], s[0:1], v[2:3] op_sel_hi:[1,0,1]
	v_pk_fma_f32 v[2:3], v[14:15], s[18:19], v[36:37] op_sel_hi:[1,0,1] neg_lo:[0,0,1] neg_hi:[0,0,1]
	v_pk_add_f32 v[12:13], v[12:13], v[10:11]
	v_pk_add_f32 v[2:3], v[2:3], v[10:11]
	v_pk_add_f32 v[20:21], v[12:13], v[4:5] neg_lo:[0,1] neg_hi:[0,1]
	v_pk_add_f32 v[4:5], v[12:13], v[4:5]
	v_pk_add_f32 v[8:9], v[2:3], v[0:1]
	v_pk_add_f32 v[0:1], v[2:3], v[0:1] neg_lo:[0,1] neg_hi:[0,1]
	v_mov_b32_e32 v12, v4
	v_mov_b32_e32 v13, v21
	;; [unrolled: 1-line block ×4, first 2 shown]
	v_add_u32_e32 v0, 0x800, v110
	ds_write2_b64 v0, v[12:13], v[2:3] offset0:96 offset1:216
	v_mov_b32_e32 v9, v1
	v_mov_b32_e32 v21, v5
	v_add_u32_e32 v0, 0x1000, v110
	v_mov_b32_e32 v19, v7
	ds_write2_b64 v0, v[8:9], v[20:21] offset0:80 offset1:200
	ds_write_b64 v110, v[18:19] offset:6656
.LBB0_39:
	s_or_b64 exec, exec, s[24:25]
	s_waitcnt lgkmcnt(0)
	; wave barrier
	s_waitcnt lgkmcnt(0)
	ds_read2_b64 v[0:3], v110 offset1:56
	v_mad_u64_u32 v[10:11], s[0:1], s10, v134, 0
	v_mov_b32_e32 v4, v11
	v_mad_u64_u32 v[4:5], s[0:1], s11, v134, v[4:5]
	v_mov_b32_e32 v11, v4
	s_waitcnt lgkmcnt(0)
	v_mul_f32_e32 v4, v143, v1
	v_fmac_f32_e32 v4, v142, v0
	v_mul_f32_e32 v0, v143, v0
	s_mov_b32 s0, 0x13813814
	v_fma_f32 v0, v142, v1, -v0
	s_mov_b32 s1, 0x3f538138
	v_cvt_f64_f32_e32 v[0:1], v0
	v_cvt_f64_f32_e32 v[4:5], v4
	v_mul_f64 v[0:1], v[0:1], s[0:1]
	v_mul_f64 v[4:5], v[4:5], s[0:1]
	v_cvt_f32_f64_e32 v13, v[0:1]
	v_mad_u64_u32 v[0:1], s[2:3], s8, v126, 0
	v_cvt_f32_f64_e32 v12, v[4:5]
	v_mov_b32_e32 v4, v1
	v_add_u32_e32 v1, 0x800, v110
	v_mad_u64_u32 v[14:15], s[2:3], s9, v126, v[4:5]
	ds_read2_b64 v[4:7], v1 offset0:80 offset1:164
	v_mov_b32_e32 v8, s12
	v_mov_b32_e32 v9, s13
	;; [unrolled: 1-line block ×3, first 2 shown]
	v_lshl_add_u64 v[8:9], v[10:11], 3, v[8:9]
	v_lshl_add_u64 v[0:1], v[0:1], 3, v[8:9]
	s_waitcnt lgkmcnt(0)
	v_mul_f32_e32 v8, v141, v7
	v_fmac_f32_e32 v8, v140, v6
	v_mul_f32_e32 v6, v141, v6
	v_fma_f32 v6, v140, v7, -v6
	s_mul_i32 s2, s9, 0x1a4
	s_mul_hi_u32 s3, s8, 0x1a4
	v_cvt_f64_f32_e32 v[8:9], v8
	v_cvt_f64_f32_e32 v[6:7], v6
	s_add_i32 s3, s3, s2
	s_mul_i32 s2, s8, 0x1a4
	v_mul_f64 v[8:9], v[8:9], s[0:1]
	v_mul_f64 v[6:7], v[6:7], s[0:1]
	s_lshl_b64 s[10:11], s[2:3], 3
	global_store_dwordx2 v[0:1], v[12:13], off
	v_cvt_f32_f64_e32 v8, v[8:9]
	v_cvt_f32_f64_e32 v9, v[6:7]
	v_lshl_add_u64 v[6:7], v[0:1], 0, s[10:11]
	v_mul_f32_e32 v0, v139, v3
	v_fmac_f32_e32 v0, v138, v2
	v_cvt_f64_f32_e32 v[0:1], v0
	v_mul_f64 v[0:1], v[0:1], s[0:1]
	global_store_dwordx2 v[6:7], v[8:9], off
	v_cvt_f32_f64_e32 v8, v[0:1]
	v_mul_f32_e32 v0, v139, v2
	v_fma_f32 v0, v138, v3, -v0
	v_cvt_f64_f32_e32 v[0:1], v0
	v_mul_f64 v[0:1], v[0:1], s[0:1]
	v_cvt_f32_f64_e32 v9, v[0:1]
	v_add_u32_e32 v0, 0xc00, v110
	ds_read2_b64 v[0:3], v0 offset0:92 offset1:148
	s_mul_hi_u32 s5, s8, 0xfffffe94
	s_mul_i32 s4, s9, 0xfffffe94
	s_sub_i32 s5, s5, s8
	s_add_i32 s5, s5, s4
	s_mul_i32 s4, s8, 0xfffffe94
	s_lshl_b64 s[8:9], s[4:5], 3
	v_lshl_add_u64 v[10:11], v[6:7], 0, s[8:9]
	s_waitcnt lgkmcnt(0)
	v_mul_f32_e32 v6, v137, v1
	v_fmac_f32_e32 v6, v136, v0
	v_cvt_f64_f32_e32 v[6:7], v6
	v_mul_f64 v[6:7], v[6:7], s[0:1]
	global_store_dwordx2 v[10:11], v[8:9], off
	v_cvt_f32_f64_e32 v12, v[6:7]
	ds_read2_b64 v[6:9], v110 offset0:112 offset1:168
	v_mul_f32_e32 v0, v137, v0
	v_fma_f32 v0, v136, v1, -v0
	v_cvt_f64_f32_e32 v[0:1], v0
	v_mul_f64 v[0:1], v[0:1], s[0:1]
	v_cvt_f32_f64_e32 v13, v[0:1]
	v_lshl_add_u64 v[0:1], v[10:11], 0, s[10:11]
	s_waitcnt lgkmcnt(0)
	v_mul_f32_e32 v10, v131, v7
	v_fmac_f32_e32 v10, v130, v6
	v_mul_f32_e32 v6, v131, v6
	v_fma_f32 v6, v130, v7, -v6
	v_cvt_f64_f32_e32 v[10:11], v10
	v_cvt_f64_f32_e32 v[6:7], v6
	v_mul_f64 v[10:11], v[10:11], s[0:1]
	v_mul_f64 v[6:7], v[6:7], s[0:1]
	v_cvt_f32_f64_e32 v10, v[10:11]
	v_cvt_f32_f64_e32 v11, v[6:7]
	v_mul_f32_e32 v6, v133, v3
	global_store_dwordx2 v[0:1], v[12:13], off
	v_lshl_add_u64 v[0:1], v[0:1], 0, s[8:9]
	v_fmac_f32_e32 v6, v132, v2
	v_mul_f32_e32 v2, v133, v2
	global_store_dwordx2 v[0:1], v[10:11], off
	v_fma_f32 v2, v132, v3, -v2
	v_lshl_add_u64 v[10:11], v[0:1], 0, s[10:11]
	v_mul_f32_e32 v0, v129, v9
	v_cvt_f64_f32_e32 v[6:7], v6
	v_cvt_f64_f32_e32 v[2:3], v2
	v_fmac_f32_e32 v0, v128, v8
	v_mul_f64 v[6:7], v[6:7], s[0:1]
	v_mul_f64 v[2:3], v[2:3], s[0:1]
	v_cvt_f64_f32_e32 v[0:1], v0
	v_cvt_f32_f64_e32 v6, v[6:7]
	v_cvt_f32_f64_e32 v7, v[2:3]
	v_mul_f64 v[0:1], v[0:1], s[0:1]
	global_store_dwordx2 v[10:11], v[6:7], off
	v_cvt_f32_f64_e32 v6, v[0:1]
	v_mul_f32_e32 v0, v129, v8
	v_fma_f32 v0, v128, v9, -v0
	v_cvt_f64_f32_e32 v[0:1], v0
	v_add_u32_e32 v14, 0x1000, v110
	v_mul_f64 v[8:9], v[0:1], s[0:1]
	ds_read2_b64 v[0:3], v14 offset0:76 offset1:132
	v_cvt_f32_f64_e32 v7, v[8:9]
	v_lshl_add_u64 v[10:11], v[10:11], 0, s[8:9]
	global_store_dwordx2 v[10:11], v[6:7], off
	s_movk_i32 s12, 0x1000
	s_waitcnt lgkmcnt(0)
	v_mul_f32_e32 v6, v125, v1
	v_fmac_f32_e32 v6, v124, v0
	v_cvt_f64_f32_e32 v[6:7], v6
	v_mul_f64 v[6:7], v[6:7], s[0:1]
	v_cvt_f32_f64_e32 v12, v[6:7]
	v_add_u32_e32 v6, 0x400, v110
	ds_read2_b64 v[6:9], v6 offset0:96 offset1:152
	v_mul_f32_e32 v0, v125, v0
	v_fma_f32 v0, v124, v1, -v0
	v_cvt_f64_f32_e32 v[0:1], v0
	v_mul_f64 v[0:1], v[0:1], s[0:1]
	v_cvt_f32_f64_e32 v13, v[0:1]
	v_lshl_add_u64 v[0:1], v[10:11], 0, s[10:11]
	s_waitcnt lgkmcnt(0)
	v_mul_f32_e32 v10, v123, v7
	v_fmac_f32_e32 v10, v122, v6
	v_mul_f32_e32 v6, v123, v6
	v_fma_f32 v6, v122, v7, -v6
	v_cvt_f64_f32_e32 v[10:11], v10
	v_cvt_f64_f32_e32 v[6:7], v6
	v_mul_f64 v[10:11], v[10:11], s[0:1]
	v_mul_f64 v[6:7], v[6:7], s[0:1]
	v_cvt_f32_f64_e32 v10, v[10:11]
	v_cvt_f32_f64_e32 v11, v[6:7]
	v_mul_f32_e32 v6, v121, v3
	global_store_dwordx2 v[0:1], v[12:13], off
	v_lshl_add_u64 v[0:1], v[0:1], 0, s[8:9]
	v_fmac_f32_e32 v6, v120, v2
	v_mul_f32_e32 v2, v121, v2
	global_store_dwordx2 v[0:1], v[10:11], off
	v_fma_f32 v2, v120, v3, -v2
	v_lshl_add_u64 v[10:11], v[0:1], 0, s[10:11]
	v_mul_f32_e32 v0, v119, v9
	v_cvt_f64_f32_e32 v[6:7], v6
	v_cvt_f64_f32_e32 v[2:3], v2
	v_fmac_f32_e32 v0, v118, v8
	v_mul_f64 v[6:7], v[6:7], s[0:1]
	v_mul_f64 v[2:3], v[2:3], s[0:1]
	v_cvt_f64_f32_e32 v[0:1], v0
	v_cvt_f32_f64_e32 v6, v[6:7]
	v_cvt_f32_f64_e32 v7, v[2:3]
	v_mul_f64 v[0:1], v[0:1], s[0:1]
	global_store_dwordx2 v[10:11], v[6:7], off
	v_cvt_f32_f64_e32 v6, v[0:1]
	v_mul_f32_e32 v0, v119, v8
	v_fma_f32 v0, v118, v9, -v0
	v_cvt_f64_f32_e32 v[8:9], v0
	ds_read2_b64 v[0:3], v14 offset0:188 offset1:244
	v_mul_f64 v[8:9], v[8:9], s[0:1]
	v_cvt_f32_f64_e32 v7, v[8:9]
	v_lshl_add_u64 v[8:9], v[10:11], 0, s[8:9]
	global_store_dwordx2 v[8:9], v[6:7], off
	s_waitcnt lgkmcnt(0)
	v_mul_f32_e32 v6, v117, v1
	v_fmac_f32_e32 v6, v116, v0
	v_mul_f32_e32 v0, v117, v0
	v_fma_f32 v0, v116, v1, -v0
	v_cvt_f64_f32_e32 v[6:7], v6
	v_cvt_f64_f32_e32 v[0:1], v0
	v_mul_f64 v[6:7], v[6:7], s[0:1]
	v_mul_f64 v[0:1], v[0:1], s[0:1]
	v_cvt_f32_f64_e32 v6, v[6:7]
	v_cvt_f32_f64_e32 v7, v[0:1]
	v_lshl_add_u64 v[0:1], v[8:9], 0, s[10:11]
	global_store_dwordx2 v[0:1], v[6:7], off
	v_mul_f32_e32 v6, v115, v5
	v_fmac_f32_e32 v6, v114, v4
	v_mul_f32_e32 v4, v115, v4
	v_fma_f32 v4, v114, v5, -v4
	v_cvt_f64_f32_e32 v[6:7], v6
	v_cvt_f64_f32_e32 v[4:5], v4
	v_mul_f64 v[6:7], v[6:7], s[0:1]
	v_mul_f64 v[4:5], v[4:5], s[0:1]
	v_cvt_f32_f64_e32 v6, v[6:7]
	v_cvt_f32_f64_e32 v7, v[4:5]
	v_mul_f32_e32 v4, v113, v3
	v_fmac_f32_e32 v4, v112, v2
	v_mul_f32_e32 v2, v113, v2
	v_fma_f32 v2, v112, v3, -v2
	v_cvt_f64_f32_e32 v[4:5], v4
	v_cvt_f64_f32_e32 v[2:3], v2
	v_lshl_add_u64 v[0:1], v[0:1], 0, s[8:9]
	v_mul_f64 v[4:5], v[4:5], s[0:1]
	v_mul_f64 v[2:3], v[2:3], s[0:1]
	global_store_dwordx2 v[0:1], v[6:7], off
	v_cvt_f32_f64_e32 v4, v[4:5]
	v_cvt_f32_f64_e32 v5, v[2:3]
	v_lshl_add_u64 v[0:1], v[0:1], 0, s[10:11]
	global_store_dwordx2 v[0:1], v[4:5], off
	s_and_b64 exec, exec, s[6:7]
	s_cbranch_execz .LBB0_41
; %bb.40:
	global_load_dwordx2 v[2:3], v[108:109], off offset:3136
	ds_read_b64 v[4:5], v110 offset:3136
	ds_read_b64 v[6:7], v110 offset:6496
	v_lshl_add_u64 v[0:1], s[4:5], 3, v[0:1]
	v_add_co_u32_e32 v8, vcc, s12, v108
	s_waitcnt vmcnt(0) lgkmcnt(1)
	v_mul_f32_e32 v10, v5, v3
	v_mul_f32_e32 v3, v4, v3
	v_fmac_f32_e32 v10, v4, v2
	v_fma_f32 v4, v2, v5, -v3
	v_cvt_f64_f32_e32 v[2:3], v10
	v_cvt_f64_f32_e32 v[4:5], v4
	v_mul_f64 v[2:3], v[2:3], s[0:1]
	v_mul_f64 v[4:5], v[4:5], s[0:1]
	v_cvt_f32_f64_e32 v2, v[2:3]
	v_cvt_f32_f64_e32 v3, v[4:5]
	v_addc_co_u32_e32 v9, vcc, 0, v109, vcc
	global_store_dwordx2 v[0:1], v[2:3], off
	global_load_dwordx2 v[2:3], v[8:9], off offset:2400
	v_lshl_add_u64 v[0:1], s[2:3], 3, v[0:1]
	s_waitcnt vmcnt(0) lgkmcnt(0)
	v_mul_f32_e32 v4, v7, v3
	v_mul_f32_e32 v3, v6, v3
	v_fmac_f32_e32 v4, v6, v2
	v_fma_f32 v5, v2, v7, -v3
	v_cvt_f64_f32_e32 v[2:3], v4
	v_cvt_f64_f32_e32 v[4:5], v5
	v_mul_f64 v[2:3], v[2:3], s[0:1]
	v_mul_f64 v[4:5], v[4:5], s[0:1]
	v_cvt_f32_f64_e32 v2, v[2:3]
	v_cvt_f32_f64_e32 v3, v[4:5]
	global_store_dwordx2 v[0:1], v[2:3], off
.LBB0_41:
	s_endpgm
	.section	.rodata,"a",@progbits
	.p2align	6, 0x0
	.amdhsa_kernel bluestein_single_fwd_len840_dim1_sp_op_CI_CI
		.amdhsa_group_segment_fixed_size 6720
		.amdhsa_private_segment_fixed_size 0
		.amdhsa_kernarg_size 104
		.amdhsa_user_sgpr_count 2
		.amdhsa_user_sgpr_dispatch_ptr 0
		.amdhsa_user_sgpr_queue_ptr 0
		.amdhsa_user_sgpr_kernarg_segment_ptr 1
		.amdhsa_user_sgpr_dispatch_id 0
		.amdhsa_user_sgpr_kernarg_preload_length 0
		.amdhsa_user_sgpr_kernarg_preload_offset 0
		.amdhsa_user_sgpr_private_segment_size 0
		.amdhsa_uses_dynamic_stack 0
		.amdhsa_enable_private_segment 0
		.amdhsa_system_sgpr_workgroup_id_x 1
		.amdhsa_system_sgpr_workgroup_id_y 0
		.amdhsa_system_sgpr_workgroup_id_z 0
		.amdhsa_system_sgpr_workgroup_info 0
		.amdhsa_system_vgpr_workitem_id 0
		.amdhsa_next_free_vgpr 214
		.amdhsa_next_free_sgpr 30
		.amdhsa_accum_offset 216
		.amdhsa_reserve_vcc 1
		.amdhsa_float_round_mode_32 0
		.amdhsa_float_round_mode_16_64 0
		.amdhsa_float_denorm_mode_32 3
		.amdhsa_float_denorm_mode_16_64 3
		.amdhsa_dx10_clamp 1
		.amdhsa_ieee_mode 1
		.amdhsa_fp16_overflow 0
		.amdhsa_tg_split 0
		.amdhsa_exception_fp_ieee_invalid_op 0
		.amdhsa_exception_fp_denorm_src 0
		.amdhsa_exception_fp_ieee_div_zero 0
		.amdhsa_exception_fp_ieee_overflow 0
		.amdhsa_exception_fp_ieee_underflow 0
		.amdhsa_exception_fp_ieee_inexact 0
		.amdhsa_exception_int_div_zero 0
	.end_amdhsa_kernel
	.text
.Lfunc_end0:
	.size	bluestein_single_fwd_len840_dim1_sp_op_CI_CI, .Lfunc_end0-bluestein_single_fwd_len840_dim1_sp_op_CI_CI
                                        ; -- End function
	.section	.AMDGPU.csdata,"",@progbits
; Kernel info:
; codeLenInByte = 17068
; NumSgprs: 36
; NumVgprs: 214
; NumAgprs: 0
; TotalNumVgprs: 214
; ScratchSize: 0
; MemoryBound: 0
; FloatMode: 240
; IeeeMode: 1
; LDSByteSize: 6720 bytes/workgroup (compile time only)
; SGPRBlocks: 4
; VGPRBlocks: 26
; NumSGPRsForWavesPerEU: 36
; NumVGPRsForWavesPerEU: 214
; AccumOffset: 216
; Occupancy: 2
; WaveLimiterHint : 1
; COMPUTE_PGM_RSRC2:SCRATCH_EN: 0
; COMPUTE_PGM_RSRC2:USER_SGPR: 2
; COMPUTE_PGM_RSRC2:TRAP_HANDLER: 0
; COMPUTE_PGM_RSRC2:TGID_X_EN: 1
; COMPUTE_PGM_RSRC2:TGID_Y_EN: 0
; COMPUTE_PGM_RSRC2:TGID_Z_EN: 0
; COMPUTE_PGM_RSRC2:TIDIG_COMP_CNT: 0
; COMPUTE_PGM_RSRC3_GFX90A:ACCUM_OFFSET: 53
; COMPUTE_PGM_RSRC3_GFX90A:TG_SPLIT: 0
	.text
	.p2alignl 6, 3212836864
	.fill 256, 4, 3212836864
	.type	__hip_cuid_f48c545f8fee5bbd,@object ; @__hip_cuid_f48c545f8fee5bbd
	.section	.bss,"aw",@nobits
	.globl	__hip_cuid_f48c545f8fee5bbd
__hip_cuid_f48c545f8fee5bbd:
	.byte	0                               ; 0x0
	.size	__hip_cuid_f48c545f8fee5bbd, 1

	.ident	"AMD clang version 19.0.0git (https://github.com/RadeonOpenCompute/llvm-project roc-6.4.0 25133 c7fe45cf4b819c5991fe208aaa96edf142730f1d)"
	.section	".note.GNU-stack","",@progbits
	.addrsig
	.addrsig_sym __hip_cuid_f48c545f8fee5bbd
	.amdgpu_metadata
---
amdhsa.kernels:
  - .agpr_count:     0
    .args:
      - .actual_access:  read_only
        .address_space:  global
        .offset:         0
        .size:           8
        .value_kind:     global_buffer
      - .actual_access:  read_only
        .address_space:  global
        .offset:         8
        .size:           8
        .value_kind:     global_buffer
      - .actual_access:  read_only
        .address_space:  global
        .offset:         16
        .size:           8
        .value_kind:     global_buffer
      - .actual_access:  read_only
        .address_space:  global
        .offset:         24
        .size:           8
        .value_kind:     global_buffer
      - .actual_access:  read_only
        .address_space:  global
        .offset:         32
        .size:           8
        .value_kind:     global_buffer
      - .offset:         40
        .size:           8
        .value_kind:     by_value
      - .address_space:  global
        .offset:         48
        .size:           8
        .value_kind:     global_buffer
      - .address_space:  global
        .offset:         56
        .size:           8
        .value_kind:     global_buffer
      - .address_space:  global
        .offset:         64
        .size:           8
        .value_kind:     global_buffer
      - .address_space:  global
        .offset:         72
        .size:           8
        .value_kind:     global_buffer
      - .offset:         80
        .size:           4
        .value_kind:     by_value
      - .address_space:  global
        .offset:         88
        .size:           8
        .value_kind:     global_buffer
      - .address_space:  global
        .offset:         96
        .size:           8
        .value_kind:     global_buffer
    .group_segment_fixed_size: 6720
    .kernarg_segment_align: 8
    .kernarg_segment_size: 104
    .language:       OpenCL C
    .language_version:
      - 2
      - 0
    .max_flat_workgroup_size: 56
    .name:           bluestein_single_fwd_len840_dim1_sp_op_CI_CI
    .private_segment_fixed_size: 0
    .sgpr_count:     36
    .sgpr_spill_count: 0
    .symbol:         bluestein_single_fwd_len840_dim1_sp_op_CI_CI.kd
    .uniform_work_group_size: 1
    .uses_dynamic_stack: false
    .vgpr_count:     214
    .vgpr_spill_count: 0
    .wavefront_size: 64
amdhsa.target:   amdgcn-amd-amdhsa--gfx950
amdhsa.version:
  - 1
  - 2
...

	.end_amdgpu_metadata
